;; amdgpu-corpus repo=ROCm/rocFFT kind=compiled arch=gfx1100 opt=O3
	.text
	.amdgcn_target "amdgcn-amd-amdhsa--gfx1100"
	.amdhsa_code_object_version 6
	.protected	bluestein_single_back_len1122_dim1_dp_op_CI_CI ; -- Begin function bluestein_single_back_len1122_dim1_dp_op_CI_CI
	.globl	bluestein_single_back_len1122_dim1_dp_op_CI_CI
	.p2align	8
	.type	bluestein_single_back_len1122_dim1_dp_op_CI_CI,@function
bluestein_single_back_len1122_dim1_dp_op_CI_CI: ; @bluestein_single_back_len1122_dim1_dp_op_CI_CI
; %bb.0:
	s_load_b128 s[4:7], s[0:1], 0x28
	v_mul_u32_u24_e32 v1, 0x283, v0
	v_mov_b32_e32 v4, 0
	s_mov_b32 s2, exec_lo
	s_delay_alu instid0(VALU_DEP_2) | instskip(NEXT) | instid1(VALU_DEP_1)
	v_lshrrev_b32_e32 v1, 16, v1
	v_lshl_add_u32 v3, s15, 1, v1
	s_delay_alu instid0(VALU_DEP_1)
	v_mov_b32_e32 v2, v3
	scratch_store_b64 off, v[2:3], off offset:4 ; 8-byte Folded Spill
	s_waitcnt lgkmcnt(0)
	v_cmpx_gt_u64_e64 s[4:5], v[3:4]
	s_cbranch_execz .LBB0_23
; %bb.1:
	v_mul_lo_u16 v2, 0x66, v1
	s_clause 0x1
	s_load_b64 s[12:13], s[0:1], 0x0
	s_load_b64 s[14:15], s[0:1], 0x38
	v_and_b32_e32 v1, 1, v1
	v_sub_nc_u16 v0, v0, v2
	s_delay_alu instid0(VALU_DEP_2) | instskip(NEXT) | instid1(VALU_DEP_2)
	v_cmp_eq_u32_e32 vcc_lo, 1, v1
	v_and_b32_e32 v2, 0xffff, v0
	v_cndmask_b32_e64 v166, 0, 0x462, vcc_lo
	v_cmp_gt_u16_e32 vcc_lo, 0x42, v0
	s_delay_alu instid0(VALU_DEP_3) | instskip(NEXT) | instid1(VALU_DEP_3)
	v_lshlrev_b32_e32 v255, 4, v2
	v_lshlrev_b32_e32 v0, 4, v166
	s_clause 0x1
	scratch_store_b32 off, v2, off
	scratch_store_b32 off, v0, off offset:12
	s_and_saveexec_b32 s3, vcc_lo
	s_cbranch_execz .LBB0_3
; %bb.2:
	s_load_b64 s[4:5], s[0:1], 0x18
	s_waitcnt lgkmcnt(0)
	v_add_co_u32 v20, s2, s12, v255
	s_delay_alu instid0(VALU_DEP_1) | instskip(NEXT) | instid1(VALU_DEP_2)
	v_add_co_ci_u32_e64 v21, null, s13, 0, s2
	v_add_co_u32 v28, s2, 0x1000, v20
	s_delay_alu instid0(VALU_DEP_1) | instskip(SKIP_1) | instid1(VALU_DEP_1)
	v_add_co_ci_u32_e64 v29, s2, 0, v21, s2
	v_add_co_u32 v44, s2, 0x2000, v20
	v_add_co_ci_u32_e64 v45, s2, 0, v21, s2
	v_add_co_u32 v120, s2, 0x3000, v20
	s_delay_alu instid0(VALU_DEP_1)
	v_add_co_ci_u32_e64 v121, s2, 0, v21, s2
	v_add_co_u32 v128, s2, 0x4000, v20
	s_load_b128 s[8:11], s[4:5], 0x0
	s_clause 0x2
	global_load_b128 v[0:3], v255, s[12:13]
	global_load_b128 v[4:7], v255, s[12:13] offset:1056
	global_load_b128 v[8:11], v255, s[12:13] offset:2112
	scratch_load_b64 v[12:13], off, off offset:4 ; 8-byte Folded Reload
	v_add_co_ci_u32_e64 v129, s2, 0, v21, s2
	s_waitcnt lgkmcnt(0)
	s_mul_i32 s4, s9, 0x420
	s_mul_hi_u32 s5, s8, 0x420
	s_delay_alu instid0(SALU_CYCLE_1)
	s_add_i32 s5, s5, s4
	s_waitcnt vmcnt(0)
	v_mov_b32_e32 v22, v12
	global_load_b128 v[12:15], v255, s[12:13] offset:3168
	scratch_load_b32 v173, off, off         ; 4-byte Folded Reload
	s_waitcnt vmcnt(0)
	v_mad_u64_u32 v[40:41], null, s8, v173, 0
	s_delay_alu instid0(VALU_DEP_1) | instskip(SKIP_1) | instid1(VALU_DEP_1)
	v_mov_b32_e32 v17, v41
	v_mad_u64_u32 v[32:33], null, s10, v22, 0
	v_mov_b32_e32 v16, v33
	s_delay_alu instid0(VALU_DEP_1) | instskip(NEXT) | instid1(VALU_DEP_1)
	v_mad_u64_u32 v[18:19], null, s11, v22, v[16:17]
	v_mov_b32_e32 v33, v18
	v_mad_u64_u32 v[34:35], null, s9, v173, v[17:18]
	s_clause 0x3
	global_load_b128 v[16:19], v[28:29], off offset:128
	global_load_b128 v[20:23], v[28:29], off offset:1184
	;; [unrolled: 1-line block ×4, first 2 shown]
	v_lshlrev_b64 v[42:43], 4, v[32:33]
	v_mov_b32_e32 v41, v34
	s_clause 0x1
	global_load_b128 v[32:35], v[44:45], off offset:256
	global_load_b128 v[36:39], v[44:45], off offset:1312
	v_add_co_u32 v42, s2, s6, v42
	s_delay_alu instid0(VALU_DEP_1) | instskip(SKIP_2) | instid1(VALU_DEP_1)
	v_add_co_ci_u32_e64 v43, s2, s7, v43, s2
	v_lshlrev_b64 v[40:41], 4, v[40:41]
	s_mul_i32 s6, s8, 0x420
	v_add_co_u32 v56, s2, v42, v40
	s_delay_alu instid0(VALU_DEP_1) | instskip(SKIP_4) | instid1(VALU_DEP_1)
	v_add_co_ci_u32_e64 v57, s2, v43, v41, s2
	s_clause 0x1
	global_load_b128 v[40:43], v[44:45], off offset:2368
	global_load_b128 v[44:47], v[44:45], off offset:3424
	v_add_co_u32 v60, s2, v56, s6
	v_add_co_ci_u32_e64 v61, s2, s5, v57, s2
	s_clause 0x1
	global_load_b128 v[48:51], v[120:121], off offset:384
	global_load_b128 v[52:55], v[120:121], off offset:1440
	v_add_co_u32 v64, s2, v60, s6
	s_delay_alu instid0(VALU_DEP_1) | instskip(SKIP_4) | instid1(VALU_DEP_1)
	v_add_co_ci_u32_e64 v65, s2, s5, v61, s2
	s_clause 0x1
	global_load_b128 v[56:59], v[56:57], off
	global_load_b128 v[60:63], v[60:61], off
	v_add_co_u32 v68, s2, v64, s6
	v_add_co_ci_u32_e64 v69, s2, s5, v65, s2
	s_delay_alu instid0(VALU_DEP_2) | instskip(NEXT) | instid1(VALU_DEP_1)
	v_add_co_u32 v72, s2, v68, s6
	v_add_co_ci_u32_e64 v73, s2, s5, v69, s2
	s_clause 0x1
	global_load_b128 v[64:67], v[64:65], off
	global_load_b128 v[68:71], v[68:69], off
	v_add_co_u32 v76, s2, v72, s6
	s_delay_alu instid0(VALU_DEP_1) | instskip(SKIP_2) | instid1(VALU_DEP_1)
	v_add_co_ci_u32_e64 v77, s2, s5, v73, s2
	global_load_b128 v[72:75], v[72:73], off
	v_add_co_u32 v80, s2, v76, s6
	v_add_co_ci_u32_e64 v81, s2, s5, v77, s2
	global_load_b128 v[76:79], v[76:77], off
	v_add_co_u32 v84, s2, v80, s6
	s_delay_alu instid0(VALU_DEP_1) | instskip(SKIP_2) | instid1(VALU_DEP_1)
	v_add_co_ci_u32_e64 v85, s2, s5, v81, s2
	global_load_b128 v[80:83], v[80:81], off
	v_add_co_u32 v88, s2, v84, s6
	v_add_co_ci_u32_e64 v89, s2, s5, v85, s2
	global_load_b128 v[84:87], v[84:85], off
	v_add_co_u32 v92, s2, v88, s6
	s_delay_alu instid0(VALU_DEP_1) | instskip(SKIP_2) | instid1(VALU_DEP_1)
	v_add_co_ci_u32_e64 v93, s2, s5, v89, s2
	global_load_b128 v[88:91], v[88:89], off
	v_add_co_u32 v96, s2, v92, s6
	v_add_co_ci_u32_e64 v97, s2, s5, v93, s2
	global_load_b128 v[92:95], v[92:93], off
	v_add_co_u32 v100, s2, v96, s6
	s_delay_alu instid0(VALU_DEP_1) | instskip(SKIP_2) | instid1(VALU_DEP_1)
	v_add_co_ci_u32_e64 v101, s2, s5, v97, s2
	global_load_b128 v[96:99], v[96:97], off
	v_add_co_u32 v104, s2, v100, s6
	v_add_co_ci_u32_e64 v105, s2, s5, v101, s2
	global_load_b128 v[100:103], v[100:101], off
	v_add_co_u32 v108, s2, v104, s6
	s_delay_alu instid0(VALU_DEP_1) | instskip(SKIP_2) | instid1(VALU_DEP_1)
	v_add_co_ci_u32_e64 v109, s2, s5, v105, s2
	global_load_b128 v[104:107], v[104:105], off
	v_add_co_u32 v112, s2, v108, s6
	v_add_co_ci_u32_e64 v113, s2, s5, v109, s2
	global_load_b128 v[108:111], v[108:109], off
	v_add_co_u32 v124, s2, v112, s6
	s_delay_alu instid0(VALU_DEP_1) | instskip(SKIP_2) | instid1(VALU_DEP_1)
	v_add_co_ci_u32_e64 v125, s2, s5, v113, s2
	global_load_b128 v[112:115], v[112:113], off
	v_add_co_u32 v132, s2, v124, s6
	v_add_co_ci_u32_e64 v133, s2, s5, v125, s2
	s_clause 0x1
	global_load_b128 v[116:119], v[120:121], off offset:2496
	global_load_b128 v[120:123], v[120:121], off offset:3552
	global_load_b128 v[124:127], v[124:125], off
	global_load_b128 v[128:131], v[128:129], off offset:512
	global_load_b128 v[132:135], v[132:133], off
	s_waitcnt vmcnt(19)
	v_mul_f64 v[136:137], v[58:59], v[2:3]
	v_mul_f64 v[2:3], v[56:57], v[2:3]
	s_waitcnt vmcnt(18)
	v_mul_f64 v[138:139], v[62:63], v[6:7]
	v_mul_f64 v[6:7], v[60:61], v[6:7]
	s_waitcnt vmcnt(17)
	v_mul_f64 v[140:141], v[66:67], v[10:11]
	v_mul_f64 v[10:11], v[64:65], v[10:11]
	s_waitcnt vmcnt(16)
	v_mul_f64 v[142:143], v[70:71], v[14:15]
	v_mul_f64 v[14:15], v[68:69], v[14:15]
	s_waitcnt vmcnt(15)
	v_mul_f64 v[144:145], v[74:75], v[18:19]
	v_mul_f64 v[18:19], v[72:73], v[18:19]
	s_waitcnt vmcnt(14)
	v_mul_f64 v[146:147], v[78:79], v[22:23]
	v_mul_f64 v[22:23], v[76:77], v[22:23]
	s_waitcnt vmcnt(13)
	v_mul_f64 v[148:149], v[82:83], v[26:27]
	v_mul_f64 v[26:27], v[80:81], v[26:27]
	s_waitcnt vmcnt(12)
	v_mul_f64 v[150:151], v[86:87], v[30:31]
	v_mul_f64 v[30:31], v[84:85], v[30:31]
	s_waitcnt vmcnt(11)
	v_mul_f64 v[152:153], v[90:91], v[34:35]
	v_mul_f64 v[34:35], v[88:89], v[34:35]
	s_waitcnt vmcnt(10)
	v_mul_f64 v[154:155], v[94:95], v[38:39]
	v_mul_f64 v[38:39], v[92:93], v[38:39]
	s_waitcnt vmcnt(9)
	v_mul_f64 v[156:157], v[98:99], v[42:43]
	v_mul_f64 v[42:43], v[96:97], v[42:43]
	s_waitcnt vmcnt(8)
	v_mul_f64 v[158:159], v[102:103], v[46:47]
	v_mul_f64 v[46:47], v[100:101], v[46:47]
	s_waitcnt vmcnt(7)
	v_mul_f64 v[160:161], v[106:107], v[50:51]
	v_mul_f64 v[50:51], v[104:105], v[50:51]
	s_waitcnt vmcnt(6)
	v_mul_f64 v[162:163], v[110:111], v[54:55]
	v_mul_f64 v[164:165], v[108:109], v[54:55]
	v_fma_f64 v[54:55], v[56:57], v[0:1], v[136:137]
	v_fma_f64 v[56:57], v[58:59], v[0:1], -v[2:3]
	v_fma_f64 v[0:1], v[60:61], v[4:5], v[138:139]
	v_fma_f64 v[2:3], v[62:63], v[4:5], -v[6:7]
	s_waitcnt vmcnt(4)
	v_mul_f64 v[167:168], v[114:115], v[118:119]
	v_mul_f64 v[118:119], v[112:113], v[118:119]
	s_waitcnt vmcnt(2)
	v_mul_f64 v[169:170], v[126:127], v[122:123]
	v_mul_f64 v[122:123], v[124:125], v[122:123]
	;; [unrolled: 3-line block ×3, first 2 shown]
	v_fma_f64 v[4:5], v[64:65], v[8:9], v[140:141]
	v_fma_f64 v[6:7], v[66:67], v[8:9], -v[10:11]
	v_fma_f64 v[8:9], v[68:69], v[12:13], v[142:143]
	v_fma_f64 v[10:11], v[70:71], v[12:13], -v[14:15]
	;; [unrolled: 2-line block ×12, first 2 shown]
	v_lshlrev_b32_e32 v53, 4, v166
	v_fma_f64 v[58:59], v[112:113], v[116:117], v[167:168]
	v_fma_f64 v[60:61], v[114:115], v[116:117], -v[118:119]
	v_fma_f64 v[62:63], v[124:125], v[120:121], v[169:170]
	v_fma_f64 v[64:65], v[126:127], v[120:121], -v[122:123]
	;; [unrolled: 2-line block ×3, first 2 shown]
	v_lshl_add_u32 v52, v173, 4, v53
	v_add_nc_u32_e32 v53, v53, v255
	ds_store_b128 v52, v[54:57]
	ds_store_b128 v53, v[0:3] offset:1056
	ds_store_b128 v53, v[4:7] offset:2112
	;; [unrolled: 1-line block ×16, first 2 shown]
.LBB0_3:
	s_or_b32 exec_lo, exec_lo, s3
	s_clause 0x1
	s_load_b64 s[4:5], s[0:1], 0x20
	s_load_b64 s[2:3], s[0:1], 0x8
	s_waitcnt lgkmcnt(0)
	s_waitcnt_vscnt null, 0x0
	s_barrier
	buffer_gl0_inv
                                        ; implicit-def: $vgpr20_vgpr21
                                        ; implicit-def: $vgpr36_vgpr37
                                        ; implicit-def: $vgpr40_vgpr41
                                        ; implicit-def: $vgpr44_vgpr45
                                        ; implicit-def: $vgpr48_vgpr49
                                        ; implicit-def: $vgpr52_vgpr53
                                        ; implicit-def: $vgpr56_vgpr57
                                        ; implicit-def: $vgpr60_vgpr61
                                        ; implicit-def: $vgpr68_vgpr69
                                        ; implicit-def: $vgpr72_vgpr73
                                        ; implicit-def: $vgpr76_vgpr77
                                        ; implicit-def: $vgpr80_vgpr81
                                        ; implicit-def: $vgpr84_vgpr85
                                        ; implicit-def: $vgpr64_vgpr65
                                        ; implicit-def: $vgpr32_vgpr33
                                        ; implicit-def: $vgpr28_vgpr29
                                        ; implicit-def: $vgpr24_vgpr25
	s_and_saveexec_b32 s0, vcc_lo
	s_cbranch_execz .LBB0_5
; %bb.4:
	v_lshl_add_u32 v0, v166, 4, v255
	ds_load_b128 v[20:23], v0
	ds_load_b128 v[36:39], v0 offset:1056
	ds_load_b128 v[40:43], v0 offset:2112
	;; [unrolled: 1-line block ×16, first 2 shown]
.LBB0_5:
	s_or_b32 exec_lo, exec_lo, s0
	s_waitcnt lgkmcnt(0)
	v_add_f64 v[156:157], v[38:39], -v[26:27]
	v_add_f64 v[104:105], v[42:43], -v[30:31]
	s_mov_b32 s0, 0x5d8e7cdc
	s_mov_b32 s8, 0x2a9d6da3
	;; [unrolled: 1-line block ×4, first 2 shown]
	v_add_f64 v[148:149], v[36:37], v[24:25]
	v_add_f64 v[106:107], v[40:41], -v[28:29]
	s_mov_b32 s6, 0x370991
	s_mov_b32 s7, 0x3fedd6d0
	v_add_f64 v[88:89], v[40:41], v[28:29]
	s_mov_b32 s10, 0x75d4884
	s_mov_b32 s11, 0x3fe7a5f6
	v_add_f64 v[187:188], v[36:37], -v[24:25]
	v_add_f64 v[183:184], v[38:39], v[26:27]
	v_add_f64 v[92:93], v[42:43], v[30:31]
	v_add_f64 v[116:117], v[46:47], -v[34:35]
	s_mov_b32 s18, 0x7c9e640b
	s_mov_b32 s19, 0xbfeca52d
	v_add_f64 v[96:97], v[44:45], v[32:33]
	s_mov_b32 s16, 0x2b2883cd
	s_mov_b32 s24, 0xeb564b22
	;; [unrolled: 1-line block ×4, first 2 shown]
	v_add_f64 v[118:119], v[44:45], -v[32:33]
	v_add_f64 v[112:113], v[46:47], v[34:35]
	s_mov_b32 s34, 0x6c9a05f6
	s_mov_b32 s35, 0xbfe9895b
	v_add_f64 v[124:125], v[50:51], -v[66:67]
	v_add_f64 v[108:109], v[48:49], v[64:65]
	s_mov_b32 s20, 0x3259b75e
	s_mov_b32 s21, 0x3fb79ee6
	;; [unrolled: 4-line block ×3, first 2 shown]
	v_add_f64 v[132:133], v[54:55], -v[86:87]
	s_mov_b32 s26, 0x923c349f
	v_mul_f64 v[0:1], v[156:157], s[0:1]
	v_mul_f64 v[2:3], v[104:105], s[8:9]
	;; [unrolled: 1-line block ×5, first 2 shown]
	s_mov_b32 s27, 0xbfeec746
	v_add_f64 v[120:121], v[52:53], v[84:85]
	v_mul_f64 v[4:5], v[106:107], s[8:9]
	v_mul_f64 v[8:9], v[106:107], s[24:25]
	s_mov_b32 s22, 0xc61f0d01
	s_mov_b32 s23, 0xbfd183b1
	v_add_f64 v[146:147], v[52:53], -v[84:85]
	v_mul_f64 v[12:13], v[106:107], s[34:35]
	v_add_f64 v[138:139], v[54:55], v[86:87]
	v_add_f64 v[167:168], v[58:59], -v[82:83]
	v_mul_f64 v[16:17], v[106:107], s[38:39]
	v_add_f64 v[134:135], v[56:57], v[80:81]
	s_mov_b32 s28, 0x6ed5f1bb
	s_mov_b32 s56, 0x4363dd80
	;; [unrolled: 1-line block ×4, first 2 shown]
	v_add_f64 v[169:170], v[56:57], -v[80:81]
	v_mul_f64 v[18:19], v[104:105], s[56:57]
	v_add_f64 v[152:153], v[58:59], v[82:83]
	v_add_f64 v[175:176], v[62:63], -v[78:79]
	s_mov_b32 s55, 0xbfe0d888
	s_mov_b32 s54, s56
	v_add_f64 v[142:143], v[60:61], v[76:77]
	s_mov_b32 s30, 0x910ea3b9
	s_mov_b32 s31, 0xbfeb34fa
	;; [unrolled: 1-line block ×4, first 2 shown]
	v_add_f64 v[177:178], v[60:61], -v[76:77]
	v_mul_f64 v[102:103], v[104:105], s[40:41]
	v_add_f64 v[162:163], v[62:63], v[78:79]
	v_add_f64 v[179:180], v[70:71], -v[74:75]
	v_add_f64 v[158:159], v[68:69], v[72:73]
	s_mov_b32 s36, 0x7faef3
	s_mov_b32 s37, 0xbfef7484
	s_clause 0x1
	scratch_store_b64 off, v[2:3], off offset:16
	scratch_store_b64 off, v[0:1], off offset:176
	v_fma_f64 v[0:1], v[148:149], s[6:7], v[0:1]
	v_fma_f64 v[2:3], v[88:89], s[10:11], v[2:3]
	v_add_f64 v[181:182], v[68:69], -v[72:73]
	v_add_f64 v[171:172], v[70:71], v[74:75]
	scratch_store_b64 off, v[4:5], off offset:32 ; 8-byte Folded Spill
	v_fma_f64 v[4:5], v[92:93], s[10:11], -v[4:5]
	v_mul_f64 v[231:232], v[156:157], s[8:9]
	v_mul_f64 v[233:234], v[187:188], s[8:9]
	s_mov_b32 s45, 0x3feca52d
	s_mov_b32 s44, s18
	;; [unrolled: 1-line block ×4, first 2 shown]
	v_mul_f64 v[235:236], v[156:157], s[18:19]
	v_mul_f64 v[237:238], v[187:188], s[18:19]
	s_mov_b32 s47, 0x3fc7851a
	s_mov_b32 s46, s38
	;; [unrolled: 1-line block ×4, first 2 shown]
	v_mul_f64 v[114:115], v[167:168], s[0:1]
	v_mul_f64 v[136:137], v[146:147], s[48:49]
	;; [unrolled: 1-line block ×12, first 2 shown]
	s_mov_b32 s51, 0x3fe9895b
	s_mov_b32 s50, s34
	v_mul_f64 v[90:91], v[179:180], s[48:49]
	v_mul_f64 v[110:111], v[175:176], s[50:51]
	;; [unrolled: 1-line block ×6, first 2 shown]
	v_add_f64 v[0:1], v[20:21], v[0:1]
	v_mul_f64 v[164:165], v[118:119], s[48:49]
	v_mul_f64 v[144:145], v[181:182], s[48:49]
	;; [unrolled: 1-line block ×5, first 2 shown]
	s_mov_b32 s53, 0x3fefdd0d
	s_mov_b32 s52, s24
	v_mul_f64 v[185:186], v[175:176], s[0:1]
	v_mul_f64 v[211:212], v[167:168], s[52:53]
	;; [unrolled: 1-line block ×17, first 2 shown]
	scratch_store_b64 off, v[6:7], off offset:256 ; 8-byte Folded Spill
	v_fma_f64 v[6:7], v[88:89], s[20:21], v[6:7]
	scratch_store_b64 off, v[8:9], off offset:288 ; 8-byte Folded Spill
	v_fma_f64 v[8:9], v[92:93], s[20:21], -v[8:9]
	scratch_store_b64 off, v[10:11], off offset:328 ; 8-byte Folded Spill
	v_fma_f64 v[10:11], v[88:89], s[28:29], v[10:11]
	scratch_store_b64 off, v[14:15], off offset:400 ; 8-byte Folded Spill
	v_fma_f64 v[14:15], v[88:89], s[36:37], v[14:15]
	scratch_store_b64 off, v[12:13], off offset:392 ; 8-byte Folded Spill
	v_fma_f64 v[12:13], v[92:93], s[28:29], -v[12:13]
	scratch_store_b64 off, v[16:17], off offset:464 ; 8-byte Folded Spill
	v_fma_f64 v[16:17], v[92:93], s[36:37], -v[16:17]
	v_fma_f64 v[100:101], v[92:93], s[30:31], -v[98:99]
	v_add_f64 v[0:1], v[2:3], v[0:1]
	v_mul_f64 v[2:3], v[187:188], s[0:1]
	scratch_store_b64 off, v[18:19], off offset:440 ; 8-byte Folded Spill
	v_fma_f64 v[18:19], v[88:89], s[30:31], v[18:19]
	scratch_store_b64 off, v[102:103], off offset:504 ; 8-byte Folded Spill
	v_fma_f64 v[102:103], v[88:89], s[22:23], v[102:103]
	v_fma_f64 v[128:129], v[92:93], s[22:23], -v[173:174]
	scratch_store_b64 off, v[2:3], off offset:248 ; 8-byte Folded Spill
	v_fma_f64 v[2:3], v[183:184], s[6:7], -v[2:3]
	s_delay_alu instid0(VALU_DEP_1) | instskip(NEXT) | instid1(VALU_DEP_1)
	v_add_f64 v[2:3], v[22:23], v[2:3]
	v_add_f64 v[2:3], v[4:5], v[2:3]
	v_mul_f64 v[4:5], v[116:117], s[18:19]
	scratch_store_b64 off, v[4:5], off offset:48 ; 8-byte Folded Spill
	v_fma_f64 v[4:5], v[96:97], s[16:17], v[4:5]
	s_delay_alu instid0(VALU_DEP_1) | instskip(SKIP_3) | instid1(VALU_DEP_1)
	v_add_f64 v[0:1], v[4:5], v[0:1]
	v_mul_f64 v[4:5], v[118:119], s[18:19]
	scratch_store_b64 off, v[4:5], off offset:80 ; 8-byte Folded Spill
	v_fma_f64 v[4:5], v[112:113], s[16:17], -v[4:5]
	v_add_f64 v[2:3], v[4:5], v[2:3]
	v_mul_f64 v[4:5], v[124:125], s[24:25]
	scratch_store_b64 off, v[4:5], off offset:64 ; 8-byte Folded Spill
	v_fma_f64 v[4:5], v[108:109], s[20:21], v[4:5]
	s_delay_alu instid0(VALU_DEP_1) | instskip(SKIP_3) | instid1(VALU_DEP_1)
	v_add_f64 v[0:1], v[4:5], v[0:1]
	v_mul_f64 v[4:5], v[130:131], s[24:25]
	scratch_store_b64 off, v[4:5], off offset:112 ; 8-byte Folded Spill
	v_fma_f64 v[4:5], v[126:127], s[20:21], -v[4:5]
	;; [unrolled: 9-line block ×6, first 2 shown]
	v_add_f64 v[2:3], v[4:5], v[2:3]
	v_fma_f64 v[4:5], v[148:149], s[10:11], v[231:232]
	s_delay_alu instid0(VALU_DEP_1) | instskip(NEXT) | instid1(VALU_DEP_1)
	v_add_f64 v[4:5], v[20:21], v[4:5]
	v_add_f64 v[4:5], v[6:7], v[4:5]
	v_fma_f64 v[6:7], v[183:184], s[10:11], -v[233:234]
	s_delay_alu instid0(VALU_DEP_1) | instskip(NEXT) | instid1(VALU_DEP_1)
	v_add_f64 v[6:7], v[22:23], v[6:7]
	v_add_f64 v[6:7], v[8:9], v[6:7]
	v_mul_f64 v[8:9], v[116:117], s[34:35]
	scratch_store_b64 off, v[8:9], off offset:272 ; 8-byte Folded Spill
	v_fma_f64 v[8:9], v[96:97], s[28:29], v[8:9]
	s_delay_alu instid0(VALU_DEP_1) | instskip(SKIP_3) | instid1(VALU_DEP_1)
	v_add_f64 v[4:5], v[8:9], v[4:5]
	v_mul_f64 v[8:9], v[118:119], s[34:35]
	scratch_store_b64 off, v[8:9], off offset:304 ; 8-byte Folded Spill
	v_fma_f64 v[8:9], v[112:113], s[28:29], -v[8:9]
	v_add_f64 v[6:7], v[8:9], v[6:7]
	v_mul_f64 v[8:9], v[124:125], s[38:39]
	scratch_store_b64 off, v[8:9], off offset:280 ; 8-byte Folded Spill
	v_fma_f64 v[8:9], v[108:109], s[36:37], v[8:9]
	s_delay_alu instid0(VALU_DEP_1) | instskip(SKIP_3) | instid1(VALU_DEP_1)
	v_add_f64 v[4:5], v[8:9], v[4:5]
	v_mul_f64 v[8:9], v[130:131], s[38:39]
	scratch_store_b64 off, v[8:9], off offset:336 ; 8-byte Folded Spill
	v_fma_f64 v[8:9], v[126:127], s[36:37], -v[8:9]
	;; [unrolled: 9-line block ×6, first 2 shown]
	v_add_f64 v[6:7], v[8:9], v[6:7]
	v_fma_f64 v[8:9], v[148:149], s[16:17], v[235:236]
	s_delay_alu instid0(VALU_DEP_1) | instskip(NEXT) | instid1(VALU_DEP_1)
	v_add_f64 v[8:9], v[20:21], v[8:9]
	v_add_f64 v[8:9], v[10:11], v[8:9]
	v_fma_f64 v[10:11], v[183:184], s[16:17], -v[237:238]
	s_delay_alu instid0(VALU_DEP_1) | instskip(NEXT) | instid1(VALU_DEP_1)
	v_add_f64 v[10:11], v[22:23], v[10:11]
	v_add_f64 v[10:11], v[12:13], v[10:11]
	v_mul_f64 v[12:13], v[116:117], s[46:47]
	scratch_store_b64 off, v[12:13], off offset:360 ; 8-byte Folded Spill
	v_fma_f64 v[12:13], v[96:97], s[36:37], v[12:13]
	s_delay_alu instid0(VALU_DEP_1) | instskip(SKIP_3) | instid1(VALU_DEP_1)
	v_add_f64 v[8:9], v[12:13], v[8:9]
	v_mul_f64 v[12:13], v[118:119], s[46:47]
	scratch_store_b64 off, v[12:13], off offset:424 ; 8-byte Folded Spill
	v_fma_f64 v[12:13], v[112:113], s[36:37], -v[12:13]
	v_add_f64 v[10:11], v[12:13], v[10:11]
	v_mul_f64 v[12:13], v[124:125], s[40:41]
	scratch_store_b64 off, v[12:13], off offset:368 ; 8-byte Folded Spill
	v_fma_f64 v[12:13], v[108:109], s[22:23], v[12:13]
	s_delay_alu instid0(VALU_DEP_1) | instskip(SKIP_3) | instid1(VALU_DEP_1)
	v_add_f64 v[8:9], v[12:13], v[8:9]
	v_mul_f64 v[12:13], v[130:131], s[40:41]
	scratch_store_b64 off, v[12:13], off offset:488 ; 8-byte Folded Spill
	v_fma_f64 v[12:13], v[126:127], s[22:23], -v[12:13]
	v_add_f64 v[10:11], v[12:13], v[10:11]
	v_mul_f64 v[12:13], v[132:133], s[48:49]
	scratch_store_b64 off, v[12:13], off offset:472 ; 8-byte Folded Spill
	v_fma_f64 v[12:13], v[120:121], s[10:11], v[12:13]
	s_delay_alu instid0(VALU_DEP_1) | instskip(SKIP_1) | instid1(VALU_DEP_1)
	v_add_f64 v[8:9], v[12:13], v[8:9]
	v_fma_f64 v[12:13], v[138:139], s[10:11], -v[136:137]
	v_add_f64 v[10:11], v[12:13], v[10:11]
	v_fma_f64 v[12:13], v[134:135], s[6:7], v[114:115]
	s_delay_alu instid0(VALU_DEP_1) | instskip(SKIP_1) | instid1(VALU_DEP_1)
	v_add_f64 v[8:9], v[12:13], v[8:9]
	v_fma_f64 v[12:13], v[152:153], s[6:7], -v[197:198]
	v_add_f64 v[10:11], v[12:13], v[10:11]
	v_mul_f64 v[12:13], v[175:176], s[24:25]
	scratch_store_b64 off, v[12:13], off offset:480 ; 8-byte Folded Spill
	v_fma_f64 v[12:13], v[142:143], s[20:21], v[12:13]
	s_delay_alu instid0(VALU_DEP_1) | instskip(SKIP_1) | instid1(VALU_DEP_1)
	v_add_f64 v[8:9], v[12:13], v[8:9]
	v_fma_f64 v[12:13], v[162:163], s[20:21], -v[253:254]
	v_add_f64 v[10:11], v[12:13], v[10:11]
	v_mul_f64 v[12:13], v[179:180], s[54:55]
	scratch_store_b64 off, v[12:13], off offset:456 ; 8-byte Folded Spill
	v_fma_f64 v[12:13], v[158:159], s[30:31], v[12:13]
	s_delay_alu instid0(VALU_DEP_1) | instskip(SKIP_3) | instid1(VALU_DEP_1)
	v_add_f64 v[8:9], v[12:13], v[8:9]
	v_mul_f64 v[12:13], v[181:182], s[54:55]
	scratch_store_b64 off, v[12:13], off offset:520 ; 8-byte Folded Spill
	v_fma_f64 v[12:13], v[171:172], s[30:31], -v[12:13]
	v_add_f64 v[10:11], v[12:13], v[10:11]
	v_fma_f64 v[12:13], v[148:149], s[20:21], v[239:240]
	s_delay_alu instid0(VALU_DEP_1) | instskip(NEXT) | instid1(VALU_DEP_1)
	v_add_f64 v[12:13], v[20:21], v[12:13]
	v_add_f64 v[12:13], v[14:15], v[12:13]
	v_fma_f64 v[14:15], v[183:184], s[20:21], -v[241:242]
	s_delay_alu instid0(VALU_DEP_1) | instskip(NEXT) | instid1(VALU_DEP_1)
	v_add_f64 v[14:15], v[22:23], v[14:15]
	v_add_f64 v[14:15], v[16:17], v[14:15]
	v_mul_f64 v[16:17], v[116:117], s[40:41]
	scratch_store_b64 off, v[16:17], off offset:432 ; 8-byte Folded Spill
	v_fma_f64 v[16:17], v[96:97], s[22:23], v[16:17]
	s_delay_alu instid0(VALU_DEP_1) | instskip(SKIP_1) | instid1(VALU_DEP_1)
	v_add_f64 v[12:13], v[16:17], v[12:13]
	v_fma_f64 v[16:17], v[112:113], s[22:23], -v[94:95]
	v_add_f64 v[14:15], v[16:17], v[14:15]
	v_mul_f64 v[16:17], v[124:125], s[42:43]
	scratch_store_b64 off, v[16:17], off offset:448 ; 8-byte Folded Spill
	v_fma_f64 v[16:17], v[108:109], s[6:7], v[16:17]
	s_delay_alu instid0(VALU_DEP_1) | instskip(SKIP_1) | instid1(VALU_DEP_1)
	v_add_f64 v[12:13], v[16:17], v[12:13]
	v_fma_f64 v[16:17], v[126:127], s[6:7], -v[150:151]
	v_add_f64 v[14:15], v[16:17], v[14:15]
	v_fma_f64 v[16:17], v[120:121], s[16:17], v[122:123]
	s_delay_alu instid0(VALU_DEP_1) | instskip(SKIP_1) | instid1(VALU_DEP_1)
	v_add_f64 v[12:13], v[16:17], v[12:13]
	v_fma_f64 v[16:17], v[138:139], s[16:17], -v[195:196]
	v_add_f64 v[14:15], v[16:17], v[14:15]
	;; [unrolled: 5-line block ×5, first 2 shown]
	v_fma_f64 v[16:17], v[148:149], s[22:23], v[243:244]
	s_delay_alu instid0(VALU_DEP_1) | instskip(NEXT) | instid1(VALU_DEP_1)
	v_add_f64 v[16:17], v[20:21], v[16:17]
	v_add_f64 v[16:17], v[18:19], v[16:17]
	v_fma_f64 v[18:19], v[183:184], s[22:23], -v[245:246]
	s_delay_alu instid0(VALU_DEP_1) | instskip(NEXT) | instid1(VALU_DEP_1)
	v_add_f64 v[18:19], v[22:23], v[18:19]
	v_add_f64 v[18:19], v[100:101], v[18:19]
	v_mul_f64 v[100:101], v[116:117], s[48:49]
	scratch_store_b64 off, v[100:101], off offset:496 ; 8-byte Folded Spill
	v_fma_f64 v[100:101], v[96:97], s[10:11], v[100:101]
	s_delay_alu instid0(VALU_DEP_1) | instskip(SKIP_1) | instid1(VALU_DEP_1)
	v_add_f64 v[16:17], v[100:101], v[16:17]
	v_fma_f64 v[100:101], v[112:113], s[10:11], -v[164:165]
	v_add_f64 v[18:19], v[100:101], v[18:19]
	v_mul_f64 v[100:101], v[124:125], s[18:19]
	scratch_store_b64 off, v[100:101], off offset:512 ; 8-byte Folded Spill
	v_fma_f64 v[100:101], v[108:109], s[16:17], v[100:101]
	s_waitcnt_vscnt null, 0x0
	s_barrier
	buffer_gl0_inv
	v_add_f64 v[16:17], v[100:101], v[16:17]
	v_fma_f64 v[100:101], v[126:127], s[16:17], -v[201:202]
	s_delay_alu instid0(VALU_DEP_1) | instskip(SKIP_1) | instid1(VALU_DEP_1)
	v_add_f64 v[18:19], v[100:101], v[18:19]
	v_fma_f64 v[100:101], v[120:121], s[36:37], v[191:192]
	v_add_f64 v[16:17], v[100:101], v[16:17]
	v_fma_f64 v[100:101], v[138:139], s[36:37], -v[219:220]
	s_delay_alu instid0(VALU_DEP_1) | instskip(SKIP_1) | instid1(VALU_DEP_1)
	v_add_f64 v[18:19], v[100:101], v[18:19]
	v_fma_f64 v[100:101], v[134:135], s[20:21], v[211:212]
	;; [unrolled: 5-line block ×5, first 2 shown]
	v_add_f64 v[100:101], v[20:21], v[100:101]
	s_delay_alu instid0(VALU_DEP_1) | instskip(SKIP_1) | instid1(VALU_DEP_1)
	v_add_f64 v[100:101], v[102:103], v[100:101]
	v_fma_f64 v[102:103], v[183:184], s[28:29], -v[249:250]
	v_add_f64 v[102:103], v[22:23], v[102:103]
	s_delay_alu instid0(VALU_DEP_1) | instskip(SKIP_1) | instid1(VALU_DEP_1)
	v_add_f64 v[102:103], v[128:129], v[102:103]
	v_mul_f64 v[128:129], v[116:117], s[0:1]
	v_fma_f64 v[140:141], v[96:97], s[6:7], v[128:129]
	s_delay_alu instid0(VALU_DEP_1) | instskip(SKIP_1) | instid1(VALU_DEP_1)
	v_add_f64 v[100:101], v[140:141], v[100:101]
	v_fma_f64 v[140:141], v[112:113], s[6:7], -v[207:208]
	v_add_f64 v[102:103], v[140:141], v[102:103]
	v_mul_f64 v[140:141], v[124:125], s[54:55]
	s_delay_alu instid0(VALU_DEP_1) | instskip(NEXT) | instid1(VALU_DEP_1)
	v_fma_f64 v[193:194], v[108:109], s[30:31], v[140:141]
	v_add_f64 v[100:101], v[193:194], v[100:101]
	v_fma_f64 v[193:194], v[126:127], s[30:31], -v[221:222]
	s_delay_alu instid0(VALU_DEP_1) | instskip(SKIP_1) | instid1(VALU_DEP_1)
	v_add_f64 v[102:103], v[193:194], v[102:103]
	v_fma_f64 v[193:194], v[120:121], s[20:21], v[209:210]
	v_add_f64 v[100:101], v[193:194], v[100:101]
	v_fma_f64 v[193:194], v[138:139], s[20:21], -v[225:226]
	s_delay_alu instid0(VALU_DEP_1) | instskip(SKIP_1) | instid1(VALU_DEP_1)
	v_add_f64 v[102:103], v[193:194], v[102:103]
	;; [unrolled: 5-line block ×4, first 2 shown]
	v_mul_f64 v[193:194], v[179:180], s[44:45]
	v_fma_f64 v[213:214], v[158:159], s[16:17], v[193:194]
	s_delay_alu instid0(VALU_DEP_1) | instskip(SKIP_1) | instid1(VALU_DEP_1)
	v_add_f64 v[100:101], v[213:214], v[100:101]
	v_mul_f64 v[213:214], v[181:182], s[44:45]
	v_fma_f64 v[251:252], v[171:172], s[16:17], -v[213:214]
	s_delay_alu instid0(VALU_DEP_1)
	v_add_f64 v[102:103], v[251:252], v[102:103]
	s_and_saveexec_b32 s33, vcc_lo
	s_cbranch_execz .LBB0_7
; %bb.6:
	v_add_f64 v[36:37], v[20:21], v[36:37]
	v_add_f64 v[38:39], v[22:23], v[38:39]
	s_delay_alu instid0(VALU_DEP_2) | instskip(NEXT) | instid1(VALU_DEP_2)
	v_add_f64 v[36:37], v[36:37], v[40:41]
	v_add_f64 v[38:39], v[38:39], v[42:43]
	v_mul_f64 v[40:41], v[183:184], s[22:23]
	v_mul_f64 v[42:43], v[148:149], s[22:23]
	s_delay_alu instid0(VALU_DEP_4) | instskip(NEXT) | instid1(VALU_DEP_4)
	v_add_f64 v[36:37], v[36:37], v[44:45]
	v_add_f64 v[38:39], v[38:39], v[46:47]
	v_mul_f64 v[44:45], v[183:184], s[20:21]
	v_add_f64 v[40:41], v[245:246], v[40:41]
	v_mul_f64 v[46:47], v[148:149], s[20:21]
	v_add_f64 v[42:43], v[42:43], -v[243:244]
	v_add_f64 v[36:37], v[36:37], v[48:49]
	v_add_f64 v[38:39], v[38:39], v[50:51]
	;; [unrolled: 1-line block ×3, first 2 shown]
	v_mul_f64 v[50:51], v[148:149], s[16:17]
	v_add_f64 v[46:47], v[46:47], -v[239:240]
	v_mul_f64 v[48:49], v[183:184], s[16:17]
	v_add_f64 v[36:37], v[36:37], v[52:53]
	v_add_f64 v[38:39], v[38:39], v[54:55]
	v_mul_f64 v[54:55], v[148:149], s[10:11]
	v_add_f64 v[50:51], v[50:51], -v[235:236]
	v_mul_f64 v[52:53], v[183:184], s[10:11]
	v_add_f64 v[48:49], v[237:238], v[48:49]
	v_add_f64 v[36:37], v[36:37], v[56:57]
	;; [unrolled: 1-line block ×3, first 2 shown]
	scratch_load_b64 v[58:59], off, off offset:248 ; 8-byte Folded Reload
	v_mul_f64 v[56:57], v[183:184], s[6:7]
	v_add_f64 v[54:55], v[54:55], -v[231:232]
	v_add_f64 v[52:53], v[233:234], v[52:53]
	v_add_f64 v[36:37], v[36:37], v[60:61]
	;; [unrolled: 1-line block ×3, first 2 shown]
	v_mul_f64 v[60:61], v[156:157], s[54:55]
	s_delay_alu instid0(VALU_DEP_3) | instskip(SKIP_3) | instid1(VALU_DEP_2)
	v_add_f64 v[36:37], v[36:37], v[68:69]
	scratch_load_b64 v[68:69], off, off offset:176 ; 8-byte Folded Reload
	v_add_f64 v[38:39], v[38:39], v[70:71]
	v_add_f64 v[36:37], v[36:37], v[72:73]
	;; [unrolled: 1-line block ×3, first 2 shown]
	s_delay_alu instid0(VALU_DEP_2) | instskip(SKIP_1) | instid1(VALU_DEP_3)
	v_add_f64 v[36:37], v[36:37], v[76:77]
	v_add_f64 v[76:77], v[22:23], v[40:41]
	;; [unrolled: 1-line block ×4, first 2 shown]
	v_mul_f64 v[44:45], v[92:93], s[6:7]
	v_add_f64 v[78:79], v[20:21], v[42:43]
	v_add_f64 v[42:43], v[20:21], v[46:47]
	v_mul_f64 v[46:47], v[112:113], s[30:31]
	v_add_f64 v[36:37], v[36:37], v[80:81]
	v_add_f64 v[38:39], v[38:39], v[82:83]
	s_delay_alu instid0(VALU_DEP_2) | instskip(NEXT) | instid1(VALU_DEP_2)
	v_add_f64 v[36:37], v[36:37], v[84:85]
	v_add_f64 v[38:39], v[38:39], v[86:87]
	s_delay_alu instid0(VALU_DEP_2) | instskip(SKIP_1) | instid1(VALU_DEP_3)
	v_add_f64 v[36:37], v[36:37], v[64:65]
	v_fma_f64 v[64:65], v[148:149], s[30:31], v[60:61]
	v_add_f64 v[38:39], v[38:39], v[66:67]
	v_mul_f64 v[66:67], v[148:149], s[6:7]
	v_fma_f64 v[60:61], v[148:149], s[30:31], -v[60:61]
	v_add_f64 v[32:33], v[36:37], v[32:33]
	v_mul_f64 v[36:37], v[183:184], s[28:29]
	v_add_f64 v[34:35], v[38:39], v[34:35]
	v_mul_f64 v[38:39], v[148:149], s[28:29]
	v_add_f64 v[64:65], v[20:21], v[64:65]
	v_add_f64 v[60:61], v[20:21], v[60:61]
	s_waitcnt vmcnt(1)
	v_add_f64 v[56:57], v[58:59], v[56:57]
	v_mul_f64 v[58:59], v[156:157], s[38:39]
	v_mul_f64 v[156:157], v[171:172], s[20:21]
	v_add_f64 v[28:29], v[32:33], v[28:29]
	v_mul_f64 v[32:33], v[183:184], s[30:31]
	v_add_f64 v[30:31], v[34:35], v[30:31]
	v_add_f64 v[38:39], v[38:39], -v[247:248]
	v_add_f64 v[36:37], v[249:250], v[36:37]
	v_add_f64 v[80:81], v[22:23], v[56:57]
	v_fma_f64 v[62:63], v[148:149], s[36:37], v[58:59]
	v_fma_f64 v[58:59], v[148:149], s[36:37], -v[58:59]
	v_add_f64 v[24:25], v[28:29], v[24:25]
	v_mul_f64 v[28:29], v[183:184], s[36:37]
	v_add_f64 v[26:27], v[30:31], v[26:27]
	v_fma_f64 v[34:35], v[187:188], s[56:57], v[32:33]
	v_add_f64 v[74:75], v[20:21], v[38:39]
	v_add_f64 v[38:39], v[20:21], v[50:51]
	v_fma_f64 v[32:33], v[187:188], s[54:55], v[32:33]
	v_add_f64 v[72:73], v[22:23], v[36:37]
	v_add_f64 v[36:37], v[22:23], v[48:49]
	v_fma_f64 v[48:49], v[118:119], s[56:57], v[46:47]
	v_mul_f64 v[183:184], v[179:180], s[52:53]
	s_waitcnt vmcnt(0)
	v_add_f64 v[66:67], v[66:67], -v[68:69]
	v_add_f64 v[62:63], v[20:21], v[62:63]
	v_add_f64 v[58:59], v[20:21], v[58:59]
	v_fma_f64 v[30:31], v[187:188], s[46:47], v[28:29]
	v_fma_f64 v[28:29], v[187:188], s[38:39], v[28:29]
	v_add_f64 v[68:69], v[22:23], v[34:35]
	v_add_f64 v[34:35], v[20:21], v[54:55]
	;; [unrolled: 1-line block ×5, first 2 shown]
	v_fma_f64 v[20:21], v[106:107], s[0:1], v[44:45]
	v_fma_f64 v[44:45], v[106:107], s[42:43], v[44:45]
	v_add_f64 v[30:31], v[22:23], v[30:31]
	v_add_f64 v[28:29], v[22:23], v[28:29]
	s_delay_alu instid0(VALU_DEP_2) | instskip(SKIP_1) | instid1(VALU_DEP_3)
	v_add_f64 v[20:21], v[20:21], v[30:31]
	v_mul_f64 v[30:31], v[104:105], s[42:43]
	v_add_f64 v[28:29], v[44:45], v[28:29]
	v_fma_f64 v[44:45], v[118:119], s[54:55], v[46:47]
	v_fma_f64 v[46:47], v[158:159], s[20:21], -v[183:184]
	v_add_f64 v[20:21], v[48:49], v[20:21]
	v_fma_f64 v[22:23], v[88:89], s[6:7], v[30:31]
	v_mul_f64 v[48:49], v[116:117], s[54:55]
	v_fma_f64 v[30:31], v[88:89], s[6:7], -v[30:31]
	v_add_f64 v[28:29], v[44:45], v[28:29]
	s_delay_alu instid0(VALU_DEP_4) | instskip(NEXT) | instid1(VALU_DEP_4)
	v_add_f64 v[22:23], v[22:23], v[62:63]
	v_fma_f64 v[50:51], v[96:97], s[30:31], v[48:49]
	s_delay_alu instid0(VALU_DEP_4)
	v_add_f64 v[30:31], v[30:31], v[58:59]
	v_fma_f64 v[44:45], v[96:97], s[30:31], -v[48:49]
	scratch_load_b64 v[48:49], off, off offset:376 ; 8-byte Folded Reload
	v_add_f64 v[22:23], v[50:51], v[22:23]
	v_mul_f64 v[50:51], v[126:127], s[10:11]
	v_add_f64 v[30:31], v[44:45], v[30:31]
	s_delay_alu instid0(VALU_DEP_2)
	v_fma_f64 v[52:53], v[130:131], s[8:9], v[50:51]
	v_fma_f64 v[44:45], v[130:131], s[48:49], v[50:51]
	scratch_load_b64 v[50:51], off, off offset:336 ; 8-byte Folded Reload
	v_add_f64 v[20:21], v[52:53], v[20:21]
	v_mul_f64 v[52:53], v[124:125], s[48:49]
	v_add_f64 v[28:29], v[44:45], v[28:29]
	s_delay_alu instid0(VALU_DEP_2)
	v_fma_f64 v[54:55], v[108:109], s[10:11], v[52:53]
	v_fma_f64 v[44:45], v[108:109], s[10:11], -v[52:53]
	scratch_load_b64 v[52:53], off, off offset:304 ; 8-byte Folded Reload
	v_add_f64 v[22:23], v[54:55], v[22:23]
	v_mul_f64 v[54:55], v[138:139], s[28:29]
	v_add_f64 v[30:31], v[44:45], v[30:31]
	s_delay_alu instid0(VALU_DEP_2)
	v_fma_f64 v[56:57], v[146:147], s[50:51], v[54:55]
	v_fma_f64 v[44:45], v[146:147], s[34:35], v[54:55]
	scratch_load_b64 v[54:55], off, off offset:288 ; 8-byte Folded Reload
	v_add_f64 v[20:21], v[56:57], v[20:21]
	v_mul_f64 v[56:57], v[132:133], s[34:35]
	v_add_f64 v[28:29], v[44:45], v[28:29]
	s_delay_alu instid0(VALU_DEP_2)
	v_fma_f64 v[62:63], v[120:121], s[28:29], v[56:57]
	v_fma_f64 v[44:45], v[120:121], s[28:29], -v[56:57]
	s_clause 0x1
	scratch_load_b64 v[56:57], off, off offset:352
	scratch_load_b64 v[58:59], off, off offset:312
	v_add_f64 v[22:23], v[62:63], v[22:23]
	v_mul_f64 v[62:63], v[152:153], s[16:17]
	v_add_f64 v[30:31], v[44:45], v[30:31]
	s_delay_alu instid0(VALU_DEP_2)
	v_fma_f64 v[82:83], v[169:170], s[18:19], v[62:63]
	v_fma_f64 v[44:45], v[169:170], s[44:45], v[62:63]
	scratch_load_b64 v[62:63], off, off offset:256 ; 8-byte Folded Reload
	v_add_f64 v[20:21], v[82:83], v[20:21]
	v_mul_f64 v[82:83], v[167:168], s[44:45]
	v_add_f64 v[28:29], v[44:45], v[28:29]
	s_delay_alu instid0(VALU_DEP_2)
	v_fma_f64 v[84:85], v[134:135], s[16:17], v[82:83]
	v_fma_f64 v[44:45], v[134:135], s[16:17], -v[82:83]
	scratch_load_b64 v[82:83], off, off offset:272 ; 8-byte Folded Reload
	v_add_f64 v[22:23], v[84:85], v[22:23]
	v_mul_f64 v[84:85], v[162:163], s[22:23]
	v_add_f64 v[30:31], v[44:45], v[30:31]
	s_delay_alu instid0(VALU_DEP_2) | instskip(SKIP_1) | instid1(VALU_DEP_2)
	v_fma_f64 v[86:87], v[177:178], s[40:41], v[84:85]
	v_fma_f64 v[44:45], v[177:178], s[26:27], v[84:85]
	v_add_f64 v[20:21], v[86:87], v[20:21]
	v_mul_f64 v[86:87], v[175:176], s[26:27]
	s_delay_alu instid0(VALU_DEP_3) | instskip(NEXT) | instid1(VALU_DEP_2)
	v_add_f64 v[28:29], v[44:45], v[28:29]
	v_fma_f64 v[44:45], v[142:143], s[22:23], -v[86:87]
	v_fma_f64 v[148:149], v[142:143], s[22:23], v[86:87]
	s_delay_alu instid0(VALU_DEP_2) | instskip(SKIP_1) | instid1(VALU_DEP_3)
	v_add_f64 v[44:45], v[44:45], v[30:31]
	v_fma_f64 v[30:31], v[181:182], s[52:53], v[156:157]
	v_add_f64 v[148:149], v[148:149], v[22:23]
	v_fma_f64 v[22:23], v[181:182], s[24:25], v[156:157]
	s_delay_alu instid0(VALU_DEP_3)
	v_add_f64 v[30:31], v[30:31], v[28:29]
	v_add_f64 v[28:29], v[46:47], v[44:45]
	scratch_load_b64 v[46:47], off, off offset:416 ; 8-byte Folded Reload
	v_mul_f64 v[44:45], v[152:153], s[22:23]
	v_add_f64 v[22:23], v[22:23], v[20:21]
	v_fma_f64 v[20:21], v[158:159], s[20:21], v[183:184]
	s_delay_alu instid0(VALU_DEP_1) | instskip(SKIP_1) | instid1(VALU_DEP_4)
	v_add_f64 v[20:21], v[20:21], v[148:149]
	s_waitcnt vmcnt(0)
	v_add_f64 v[44:45], v[46:47], v[44:45]
	v_mul_f64 v[46:47], v[138:139], s[30:31]
	s_delay_alu instid0(VALU_DEP_1) | instskip(SKIP_1) | instid1(VALU_DEP_1)
	v_add_f64 v[46:47], v[48:49], v[46:47]
	v_mul_f64 v[48:49], v[126:127], s[36:37]
	v_add_f64 v[48:49], v[50:51], v[48:49]
	v_mul_f64 v[50:51], v[112:113], s[28:29]
	s_delay_alu instid0(VALU_DEP_1) | instskip(SKIP_1) | instid1(VALU_DEP_1)
	v_add_f64 v[50:51], v[52:53], v[50:51]
	v_mul_f64 v[52:53], v[92:93], s[20:21]
	v_add_f64 v[52:53], v[54:55], v[52:53]
	v_mul_f64 v[54:55], v[134:135], s[22:23]
	s_delay_alu instid0(VALU_DEP_2) | instskip(NEXT) | instid1(VALU_DEP_2)
	v_add_f64 v[32:33], v[52:53], v[32:33]
	v_add_f64 v[54:55], v[54:55], -v[56:57]
	v_mul_f64 v[56:57], v[120:121], s[30:31]
	v_mul_f64 v[52:53], v[108:109], s[36:37]
	s_delay_alu instid0(VALU_DEP_4) | instskip(SKIP_1) | instid1(VALU_DEP_4)
	v_add_f64 v[32:33], v[50:51], v[32:33]
	v_mul_f64 v[50:51], v[162:163], s[16:17]
	v_add_f64 v[56:57], v[56:57], -v[58:59]
	v_mul_f64 v[58:59], v[88:89], s[20:21]
	s_delay_alu instid0(VALU_DEP_4) | instskip(SKIP_1) | instid1(VALU_DEP_3)
	v_add_f64 v[32:33], v[48:49], v[32:33]
	v_mul_f64 v[48:49], v[142:143], s[16:17]
	v_add_f64 v[58:59], v[58:59], -v[62:63]
	v_mul_f64 v[62:63], v[96:97], s[28:29]
	s_delay_alu instid0(VALU_DEP_4) | instskip(SKIP_1) | instid1(VALU_DEP_4)
	v_add_f64 v[32:33], v[46:47], v[32:33]
	v_mul_f64 v[46:47], v[171:172], s[6:7]
	v_add_f64 v[34:35], v[58:59], v[34:35]
	scratch_load_b64 v[58:59], off, off offset:280 ; 8-byte Folded Reload
	v_add_f64 v[62:63], v[62:63], -v[82:83]
	scratch_load_b64 v[82:83], off, off offset:360 ; 8-byte Folded Reload
	v_add_f64 v[32:33], v[44:45], v[32:33]
	v_mul_f64 v[44:45], v[158:159], s[6:7]
	v_add_f64 v[34:35], v[62:63], v[34:35]
	scratch_load_b64 v[62:63], off, off offset:328 ; 8-byte Folded Reload
	s_waitcnt vmcnt(2)
	v_add_f64 v[52:53], v[52:53], -v[58:59]
	scratch_load_b64 v[58:59], off, off offset:384 ; 8-byte Folded Reload
	v_add_f64 v[34:35], v[52:53], v[34:35]
	scratch_load_b64 v[52:53], off, off offset:320 ; 8-byte Folded Reload
	v_add_f64 v[34:35], v[56:57], v[34:35]
	v_mul_f64 v[56:57], v[120:121], s[10:11]
	s_delay_alu instid0(VALU_DEP_2)
	v_add_f64 v[34:35], v[54:55], v[34:35]
	scratch_load_b64 v[54:55], off, off offset:392 ; 8-byte Folded Reload
	s_waitcnt vmcnt(2)
	v_add_f64 v[50:51], v[58:59], v[50:51]
	scratch_load_b64 v[58:59], off, off offset:472 ; 8-byte Folded Reload
	s_waitcnt vmcnt(2)
	v_add_f64 v[48:49], v[48:49], -v[52:53]
	scratch_load_b64 v[52:53], off, off offset:408 ; 8-byte Folded Reload
	v_add_f64 v[32:33], v[50:51], v[32:33]
	scratch_load_b64 v[50:51], off, off offset:488 ; 8-byte Folded Reload
	v_add_f64 v[48:49], v[48:49], v[34:35]
	s_waitcnt vmcnt(2)
	v_add_f64 v[56:57], v[56:57], -v[58:59]
	v_mul_f64 v[58:59], v[88:89], s[28:29]
	s_delay_alu instid0(VALU_DEP_1) | instskip(SKIP_1) | instid1(VALU_DEP_2)
	v_add_f64 v[58:59], v[58:59], -v[62:63]
	v_mul_f64 v[62:63], v[96:97], s[36:37]
	v_add_f64 v[38:39], v[58:59], v[38:39]
	s_delay_alu instid0(VALU_DEP_2)
	v_add_f64 v[62:63], v[62:63], -v[82:83]
	scratch_load_b64 v[82:83], off, off offset:432 ; 8-byte Folded Reload
	s_waitcnt vmcnt(2)
	v_add_f64 v[46:47], v[52:53], v[46:47]
	scratch_load_b64 v[52:53], off, off offset:344 ; 8-byte Folded Reload
	v_add_f64 v[38:39], v[62:63], v[38:39]
	s_clause 0x1
	scratch_load_b64 v[62:63], off, off offset:400
	scratch_load_b64 v[58:59], off, off offset:368
	v_add_f64 v[34:35], v[46:47], v[32:33]
	v_mul_f64 v[46:47], v[138:139], s[10:11]
	s_delay_alu instid0(VALU_DEP_1)
	v_add_f64 v[46:47], v[136:137], v[46:47]
	s_waitcnt vmcnt(2)
	v_add_f64 v[44:45], v[44:45], -v[52:53]
	scratch_load_b64 v[52:53], off, off offset:424 ; 8-byte Folded Reload
	v_add_f64 v[32:33], v[44:45], v[48:49]
	v_mul_f64 v[48:49], v[126:127], s[22:23]
	v_mul_f64 v[44:45], v[152:153], s[6:7]
	s_delay_alu instid0(VALU_DEP_2) | instskip(SKIP_1) | instid1(VALU_DEP_3)
	v_add_f64 v[48:49], v[50:51], v[48:49]
	v_mul_f64 v[50:51], v[112:113], s[36:37]
	v_add_f64 v[44:45], v[197:198], v[44:45]
	s_waitcnt vmcnt(0)
	s_delay_alu instid0(VALU_DEP_2) | instskip(SKIP_1) | instid1(VALU_DEP_1)
	v_add_f64 v[50:51], v[52:53], v[50:51]
	v_mul_f64 v[52:53], v[92:93], s[28:29]
	v_add_f64 v[52:53], v[54:55], v[52:53]
	v_mul_f64 v[54:55], v[134:135], s[6:7]
	s_delay_alu instid0(VALU_DEP_2) | instskip(SKIP_1) | instid1(VALU_DEP_3)
	v_add_f64 v[36:37], v[52:53], v[36:37]
	v_mul_f64 v[52:53], v[108:109], s[22:23]
	v_add_f64 v[54:55], v[54:55], -v[114:115]
	s_delay_alu instid0(VALU_DEP_3) | instskip(NEXT) | instid1(VALU_DEP_3)
	v_add_f64 v[36:37], v[50:51], v[36:37]
	v_add_f64 v[52:53], v[52:53], -v[58:59]
	v_mul_f64 v[58:59], v[88:89], s[36:37]
	v_mul_f64 v[50:51], v[162:163], s[20:21]
	s_delay_alu instid0(VALU_DEP_4) | instskip(NEXT) | instid1(VALU_DEP_4)
	v_add_f64 v[36:37], v[48:49], v[36:37]
	v_add_f64 v[38:39], v[52:53], v[38:39]
	scratch_load_b64 v[52:53], off, off offset:480 ; 8-byte Folded Reload
	v_mul_f64 v[48:49], v[142:143], s[20:21]
	v_add_f64 v[58:59], v[58:59], -v[62:63]
	v_mul_f64 v[62:63], v[96:97], s[22:23]
	v_add_f64 v[50:51], v[253:254], v[50:51]
	v_add_f64 v[36:37], v[46:47], v[36:37]
	v_mul_f64 v[46:47], v[171:172], s[30:31]
	v_add_f64 v[38:39], v[56:57], v[38:39]
	v_mul_f64 v[56:57], v[120:121], s[16:17]
	v_add_f64 v[42:43], v[58:59], v[42:43]
	v_add_f64 v[62:63], v[62:63], -v[82:83]
	scratch_load_b64 v[82:83], off, off offset:496 ; 8-byte Folded Reload
	v_add_f64 v[36:37], v[44:45], v[36:37]
	v_mul_f64 v[44:45], v[158:159], s[30:31]
	v_add_f64 v[38:39], v[54:55], v[38:39]
	v_add_f64 v[56:57], v[56:57], -v[122:123]
	s_clause 0x1
	scratch_load_b64 v[54:55], off, off offset:464
	scratch_load_b64 v[58:59], off, off offset:448
	v_add_f64 v[42:43], v[62:63], v[42:43]
	scratch_load_b64 v[62:63], off, off offset:440 ; 8-byte Folded Reload
	v_add_f64 v[36:37], v[50:51], v[36:37]
	v_mul_f64 v[50:51], v[112:113], s[22:23]
	s_delay_alu instid0(VALU_DEP_1)
	v_add_f64 v[50:51], v[94:95], v[50:51]
	v_mul_f64 v[94:95], v[179:180], s[26:27]
	s_waitcnt vmcnt(4)
	v_add_f64 v[48:49], v[48:49], -v[52:53]
	scratch_load_b64 v[52:53], off, off offset:520 ; 8-byte Folded Reload
	v_add_f64 v[48:49], v[48:49], v[38:39]
	s_waitcnt vmcnt(0)
	v_add_f64 v[46:47], v[52:53], v[46:47]
	scratch_load_b64 v[52:53], off, off offset:456 ; 8-byte Folded Reload
	v_add_f64 v[38:39], v[46:47], v[36:37]
	v_mul_f64 v[46:47], v[138:139], s[16:17]
	s_delay_alu instid0(VALU_DEP_1) | instskip(SKIP_3) | instid1(VALU_DEP_2)
	v_add_f64 v[46:47], v[195:196], v[46:47]
	s_waitcnt vmcnt(0)
	v_add_f64 v[44:45], v[44:45], -v[52:53]
	v_mul_f64 v[52:53], v[92:93], s[36:37]
	v_add_f64 v[36:37], v[44:45], v[48:49]
	s_delay_alu instid0(VALU_DEP_2) | instskip(SKIP_3) | instid1(VALU_DEP_4)
	v_add_f64 v[52:53], v[54:55], v[52:53]
	v_mul_f64 v[48:49], v[126:127], s[6:7]
	v_mul_f64 v[44:45], v[152:153], s[30:31]
	;; [unrolled: 1-line block ×3, first 2 shown]
	v_add_f64 v[40:41], v[52:53], v[40:41]
	v_mul_f64 v[52:53], v[108:109], s[6:7]
	v_add_f64 v[48:49], v[150:151], v[48:49]
	v_add_f64 v[44:45], v[215:216], v[44:45]
	v_add_f64 v[54:55], v[54:55], -v[189:190]
	v_add_f64 v[40:41], v[50:51], v[40:41]
	v_add_f64 v[52:53], v[52:53], -v[58:59]
	v_mul_f64 v[58:59], v[88:89], s[30:31]
	v_mul_f64 v[50:51], v[162:163], s[28:29]
	s_delay_alu instid0(VALU_DEP_4) | instskip(NEXT) | instid1(VALU_DEP_4)
	v_add_f64 v[40:41], v[48:49], v[40:41]
	v_add_f64 v[42:43], v[52:53], v[42:43]
	s_delay_alu instid0(VALU_DEP_4)
	v_add_f64 v[58:59], v[58:59], -v[62:63]
	v_mul_f64 v[52:53], v[92:93], s[30:31]
	v_mul_f64 v[48:49], v[142:143], s[28:29]
	v_add_f64 v[50:51], v[154:155], v[50:51]
	v_mul_f64 v[62:63], v[96:97], s[10:11]
	v_add_f64 v[40:41], v[46:47], v[40:41]
	v_add_f64 v[42:43], v[56:57], v[42:43]
	v_add_f64 v[58:59], v[58:59], v[78:79]
	scratch_load_b64 v[78:79], off, off offset:512 ; 8-byte Folded Reload
	v_add_f64 v[52:53], v[98:99], v[52:53]
	v_add_f64 v[48:49], v[48:49], -v[110:111]
	v_mul_f64 v[46:47], v[171:172], s[10:11]
	v_add_f64 v[62:63], v[62:63], -v[82:83]
	v_mul_f64 v[56:57], v[120:121], s[36:37]
	v_mul_f64 v[98:99], v[171:172], s[22:23]
	v_add_f64 v[40:41], v[44:45], v[40:41]
	v_add_f64 v[42:43], v[54:55], v[42:43]
	v_mul_f64 v[44:45], v[158:159], s[10:11]
	v_mul_f64 v[54:55], v[134:135], s[20:21]
	v_add_f64 v[52:53], v[52:53], v[76:77]
	v_mul_f64 v[76:77], v[108:109], s[16:17]
	v_add_f64 v[46:47], v[144:145], v[46:47]
	v_add_f64 v[56:57], v[56:57], -v[191:192]
	v_add_f64 v[40:41], v[50:51], v[40:41]
	v_add_f64 v[48:49], v[48:49], v[42:43]
	v_add_f64 v[44:45], v[44:45], -v[90:91]
	v_mul_f64 v[50:51], v[112:113], s[10:11]
	v_add_f64 v[54:55], v[54:55], -v[211:212]
	v_add_f64 v[42:43], v[46:47], v[40:41]
	v_mul_f64 v[46:47], v[138:139], s[36:37]
	v_add_f64 v[40:41], v[44:45], v[48:49]
	v_mul_f64 v[48:49], v[126:127], s[16:17]
	;; [unrolled: 2-line block ×3, first 2 shown]
	v_add_f64 v[46:47], v[219:220], v[46:47]
	s_delay_alu instid0(VALU_DEP_4) | instskip(NEXT) | instid1(VALU_DEP_4)
	v_add_f64 v[48:49], v[201:202], v[48:49]
	v_add_f64 v[50:51], v[50:51], v[52:53]
	;; [unrolled: 1-line block ×4, first 2 shown]
	v_mul_f64 v[58:59], v[162:163], s[6:7]
	v_mul_f64 v[62:63], v[120:121], s[20:21]
	v_add_f64 v[48:49], v[48:49], v[50:51]
	s_delay_alu instid0(VALU_DEP_3) | instskip(NEXT) | instid1(VALU_DEP_3)
	v_add_f64 v[58:59], v[203:204], v[58:59]
	v_add_f64 v[62:63], v[62:63], -v[209:210]
	s_delay_alu instid0(VALU_DEP_3) | instskip(NEXT) | instid1(VALU_DEP_1)
	v_add_f64 v[46:47], v[46:47], v[48:49]
	v_add_f64 v[44:45], v[44:45], v[46:47]
	s_delay_alu instid0(VALU_DEP_1)
	v_add_f64 v[44:45], v[58:59], v[44:45]
	v_mul_f64 v[58:59], v[134:135], s[10:11]
	s_waitcnt vmcnt(0)
	v_add_f64 v[76:77], v[76:77], -v[78:79]
	scratch_load_b64 v[78:79], off, off offset:504 ; 8-byte Folded Reload
	v_add_f64 v[58:59], v[58:59], -v[223:224]
	v_add_f64 v[50:51], v[76:77], v[52:53]
	v_mul_f64 v[52:53], v[142:143], s[6:7]
	v_mul_f64 v[76:77], v[88:89], s[22:23]
	s_delay_alu instid0(VALU_DEP_3) | instskip(NEXT) | instid1(VALU_DEP_3)
	v_add_f64 v[48:49], v[56:57], v[50:51]
	v_add_f64 v[52:53], v[52:53], -v[185:186]
	v_mul_f64 v[50:51], v[171:172], s[28:29]
	v_mul_f64 v[56:57], v[92:93], s[22:23]
	s_delay_alu instid0(VALU_DEP_4) | instskip(SKIP_1) | instid1(VALU_DEP_4)
	v_add_f64 v[46:47], v[54:55], v[48:49]
	v_mul_f64 v[48:49], v[158:159], s[28:29]
	v_add_f64 v[50:51], v[199:200], v[50:51]
	v_mul_f64 v[54:55], v[112:113], s[6:7]
	v_add_f64 v[56:57], v[173:174], v[56:57]
	v_add_f64 v[52:53], v[52:53], v[46:47]
	v_add_f64 v[48:49], v[48:49], -v[160:161]
	v_add_f64 v[46:47], v[50:51], v[44:45]
	v_add_f64 v[54:55], v[207:208], v[54:55]
	;; [unrolled: 1-line block ×3, first 2 shown]
	v_mul_f64 v[50:51], v[138:139], s[20:21]
	v_add_f64 v[44:45], v[48:49], v[52:53]
	v_mul_f64 v[52:53], v[126:127], s[30:31]
	v_mul_f64 v[48:49], v[152:153], s[10:11]
	v_add_f64 v[54:55], v[54:55], v[56:57]
	v_add_f64 v[50:51], v[225:226], v[50:51]
	s_delay_alu instid0(VALU_DEP_4) | instskip(NEXT) | instid1(VALU_DEP_4)
	v_add_f64 v[52:53], v[221:222], v[52:53]
	v_add_f64 v[48:49], v[229:230], v[48:49]
	s_delay_alu instid0(VALU_DEP_2) | instskip(NEXT) | instid1(VALU_DEP_1)
	v_add_f64 v[52:53], v[52:53], v[54:55]
	v_add_f64 v[50:51], v[50:51], v[52:53]
	s_waitcnt vmcnt(0)
	v_add_f64 v[76:77], v[76:77], -v[78:79]
	v_mul_f64 v[78:79], v[96:97], s[6:7]
	s_delay_alu instid0(VALU_DEP_3) | instskip(NEXT) | instid1(VALU_DEP_3)
	v_add_f64 v[48:49], v[48:49], v[50:51]
	v_add_f64 v[72:73], v[76:77], v[74:75]
	s_delay_alu instid0(VALU_DEP_3) | instskip(SKIP_1) | instid1(VALU_DEP_2)
	v_add_f64 v[78:79], v[78:79], -v[128:129]
	v_mul_f64 v[74:75], v[108:109], s[30:31]
	v_add_f64 v[56:57], v[78:79], v[72:73]
	s_delay_alu instid0(VALU_DEP_2) | instskip(SKIP_1) | instid1(VALU_DEP_2)
	v_add_f64 v[74:75], v[74:75], -v[140:141]
	v_mul_f64 v[72:73], v[162:163], s[36:37]
	v_add_f64 v[54:55], v[74:75], v[56:57]
	v_mul_f64 v[56:57], v[142:143], s[36:37]
	s_delay_alu instid0(VALU_DEP_3) | instskip(NEXT) | instid1(VALU_DEP_3)
	v_add_f64 v[72:73], v[217:218], v[72:73]
	v_add_f64 v[52:53], v[62:63], v[54:55]
	s_delay_alu instid0(VALU_DEP_3) | instskip(SKIP_1) | instid1(VALU_DEP_4)
	v_add_f64 v[56:57], v[56:57], -v[205:206]
	v_mul_f64 v[54:55], v[171:172], s[16:17]
	v_add_f64 v[48:49], v[72:73], v[48:49]
	s_delay_alu instid0(VALU_DEP_4) | instskip(SKIP_1) | instid1(VALU_DEP_4)
	v_add_f64 v[50:51], v[58:59], v[52:53]
	v_mul_f64 v[52:53], v[158:159], s[16:17]
	v_add_f64 v[54:55], v[213:214], v[54:55]
	v_mul_f64 v[58:59], v[104:105], s[44:45]
	s_delay_alu instid0(VALU_DEP_4) | instskip(NEXT) | instid1(VALU_DEP_4)
	v_add_f64 v[56:57], v[56:57], v[50:51]
	v_add_f64 v[52:53], v[52:53], -v[193:194]
	s_delay_alu instid0(VALU_DEP_4) | instskip(NEXT) | instid1(VALU_DEP_4)
	v_add_f64 v[50:51], v[54:55], v[48:49]
	v_fma_f64 v[54:55], v[88:89], s[16:17], -v[58:59]
	v_fma_f64 v[58:59], v[88:89], s[16:17], v[58:59]
	s_delay_alu instid0(VALU_DEP_4) | instskip(SKIP_1) | instid1(VALU_DEP_4)
	v_add_f64 v[48:49], v[52:53], v[56:57]
	v_mul_f64 v[56:57], v[92:93], s[16:17]
	v_add_f64 v[54:55], v[54:55], v[60:61]
	v_mul_f64 v[60:61], v[112:113], s[20:21]
	v_add_f64 v[58:59], v[58:59], v[64:65]
	scratch_load_b64 v[64:65], off, off offset:144 ; 8-byte Folded Reload
	v_fma_f64 v[52:53], v[106:107], s[44:45], v[56:57]
	v_fma_f64 v[56:57], v[106:107], s[18:19], v[56:57]
	;; [unrolled: 1-line block ×4, first 2 shown]
	s_delay_alu instid0(VALU_DEP_4) | instskip(NEXT) | instid1(VALU_DEP_4)
	v_add_f64 v[52:53], v[52:53], v[70:71]
	v_add_f64 v[56:57], v[56:57], v[68:69]
	scratch_load_b64 v[68:69], off, off offset:112 ; 8-byte Folded Reload
	v_add_f64 v[52:53], v[62:63], v[52:53]
	v_mul_f64 v[62:63], v[116:117], s[24:25]
	v_add_f64 v[56:57], v[60:61], v[56:57]
	s_delay_alu instid0(VALU_DEP_2) | instskip(SKIP_2) | instid1(VALU_DEP_3)
	v_fma_f64 v[70:71], v[96:97], s[20:21], -v[62:63]
	v_fma_f64 v[60:61], v[96:97], s[20:21], v[62:63]
	v_fma_f64 v[62:63], v[158:159], s[22:23], v[94:95]
	v_add_f64 v[54:55], v[70:71], v[54:55]
	v_mul_f64 v[70:71], v[126:127], s[28:29]
	s_delay_alu instid0(VALU_DEP_4) | instskip(NEXT) | instid1(VALU_DEP_2)
	v_add_f64 v[58:59], v[60:61], v[58:59]
	v_fma_f64 v[72:73], v[130:131], s[50:51], v[70:71]
	v_fma_f64 v[70:71], v[130:131], s[34:35], v[70:71]
	s_delay_alu instid0(VALU_DEP_2) | instskip(SKIP_1) | instid1(VALU_DEP_3)
	v_add_f64 v[52:53], v[72:73], v[52:53]
	v_mul_f64 v[72:73], v[124:125], s[50:51]
	v_add_f64 v[56:57], v[70:71], v[56:57]
	scratch_load_b64 v[70:71], off, off offset:80 ; 8-byte Folded Reload
	v_fma_f64 v[74:75], v[108:109], s[28:29], -v[72:73]
	v_fma_f64 v[60:61], v[108:109], s[28:29], v[72:73]
	scratch_load_b64 v[72:73], off, off offset:32 ; 8-byte Folded Reload
	v_add_f64 v[54:55], v[74:75], v[54:55]
	v_mul_f64 v[74:75], v[138:139], s[6:7]
	v_add_f64 v[58:59], v[60:61], v[58:59]
	s_delay_alu instid0(VALU_DEP_2) | instskip(SKIP_1) | instid1(VALU_DEP_2)
	v_fma_f64 v[76:77], v[146:147], s[0:1], v[74:75]
	v_fma_f64 v[74:75], v[146:147], s[42:43], v[74:75]
	v_add_f64 v[52:53], v[76:77], v[52:53]
	v_mul_f64 v[76:77], v[132:133], s[0:1]
	s_delay_alu instid0(VALU_DEP_3) | instskip(SKIP_3) | instid1(VALU_DEP_2)
	v_add_f64 v[56:57], v[74:75], v[56:57]
	scratch_load_b64 v[74:75], off, off offset:128 ; 8-byte Folded Reload
	v_fma_f64 v[78:79], v[120:121], s[6:7], -v[76:77]
	v_fma_f64 v[60:61], v[120:121], s[6:7], v[76:77]
	v_add_f64 v[54:55], v[78:79], v[54:55]
	v_mul_f64 v[78:79], v[152:153], s[36:37]
	s_delay_alu instid0(VALU_DEP_3) | instskip(NEXT) | instid1(VALU_DEP_2)
	v_add_f64 v[58:59], v[60:61], v[58:59]
	v_fma_f64 v[82:83], v[169:170], s[38:39], v[78:79]
	v_fma_f64 v[78:79], v[169:170], s[46:47], v[78:79]
	s_delay_alu instid0(VALU_DEP_2) | instskip(SKIP_1) | instid1(VALU_DEP_3)
	v_add_f64 v[52:53], v[82:83], v[52:53]
	v_mul_f64 v[82:83], v[167:168], s[38:39]
	v_add_f64 v[56:57], v[78:79], v[56:57]
	scratch_load_b64 v[78:79], off, off offset:48 ; 8-byte Folded Reload
	v_fma_f64 v[84:85], v[134:135], s[36:37], -v[82:83]
	v_fma_f64 v[60:61], v[134:135], s[36:37], v[82:83]
	s_clause 0x1
	scratch_load_b64 v[82:83], off, off offset:64
	scratch_load_b64 v[76:77], off, off offset:16
	v_add_f64 v[54:55], v[84:85], v[54:55]
	v_mul_f64 v[84:85], v[162:163], s[10:11]
	v_add_f64 v[58:59], v[60:61], v[58:59]
	s_delay_alu instid0(VALU_DEP_2) | instskip(SKIP_1) | instid1(VALU_DEP_2)
	v_fma_f64 v[86:87], v[177:178], s[48:49], v[84:85]
	v_fma_f64 v[84:85], v[177:178], s[8:9], v[84:85]
	v_add_f64 v[52:53], v[86:87], v[52:53]
	v_mul_f64 v[86:87], v[175:176], s[48:49]
	s_delay_alu instid0(VALU_DEP_3) | instskip(NEXT) | instid1(VALU_DEP_2)
	v_add_f64 v[56:57], v[84:85], v[56:57]
	v_fma_f64 v[90:91], v[142:143], s[10:11], -v[86:87]
	v_fma_f64 v[60:61], v[142:143], s[10:11], v[86:87]
	s_delay_alu instid0(VALU_DEP_2) | instskip(SKIP_1) | instid1(VALU_DEP_3)
	v_add_f64 v[90:91], v[90:91], v[54:55]
	v_fma_f64 v[54:55], v[181:182], s[26:27], v[98:99]
	v_add_f64 v[60:61], v[60:61], v[58:59]
	s_delay_alu instid0(VALU_DEP_2) | instskip(SKIP_1) | instid1(VALU_DEP_1)
	v_add_f64 v[54:55], v[54:55], v[52:53]
	v_fma_f64 v[52:53], v[158:159], s[22:23], -v[94:95]
	v_add_f64 v[52:53], v[52:53], v[90:91]
	v_fma_f64 v[90:91], v[181:182], s[40:41], v[98:99]
	s_delay_alu instid0(VALU_DEP_1) | instskip(SKIP_4) | instid1(VALU_DEP_1)
	v_add_f64 v[58:59], v[90:91], v[56:57]
	v_add_f64 v[56:57], v[62:63], v[60:61]
	scratch_load_b64 v[62:63], off, off offset:192 ; 8-byte Folded Reload
	v_mul_f64 v[60:61], v[152:153], s[28:29]
	s_waitcnt vmcnt(0)
	v_add_f64 v[60:61], v[62:63], v[60:61]
	v_mul_f64 v[62:63], v[138:139], s[22:23]
	s_delay_alu instid0(VALU_DEP_1) | instskip(SKIP_1) | instid1(VALU_DEP_1)
	v_add_f64 v[62:63], v[64:65], v[62:63]
	v_mul_f64 v[64:65], v[126:127], s[20:21]
	v_add_f64 v[64:65], v[68:69], v[64:65]
	v_mul_f64 v[68:69], v[112:113], s[16:17]
	s_delay_alu instid0(VALU_DEP_1) | instskip(SKIP_1) | instid1(VALU_DEP_1)
	v_add_f64 v[68:69], v[70:71], v[68:69]
	v_mul_f64 v[70:71], v[92:93], s[10:11]
	v_add_f64 v[70:71], v[72:73], v[70:71]
	v_mul_f64 v[72:73], v[134:135], s[28:29]
	s_delay_alu instid0(VALU_DEP_2)
	v_add_f64 v[70:71], v[70:71], v[80:81]
	scratch_load_b64 v[80:81], off, off offset:96 ; 8-byte Folded Reload
	v_add_f64 v[72:73], v[72:73], -v[74:75]
	v_mul_f64 v[74:75], v[88:89], s[10:11]
	v_add_f64 v[68:69], v[68:69], v[70:71]
	v_mul_f64 v[70:71], v[162:163], s[30:31]
	s_delay_alu instid0(VALU_DEP_3) | instskip(SKIP_1) | instid1(VALU_DEP_4)
	v_add_f64 v[74:75], v[74:75], -v[76:77]
	v_mul_f64 v[76:77], v[96:97], s[16:17]
	v_add_f64 v[64:65], v[64:65], v[68:69]
	v_mul_f64 v[68:69], v[142:143], s[30:31]
	s_delay_alu instid0(VALU_DEP_4) | instskip(NEXT) | instid1(VALU_DEP_4)
	v_add_f64 v[66:67], v[74:75], v[66:67]
	v_add_f64 v[76:77], v[76:77], -v[78:79]
	v_mul_f64 v[78:79], v[108:109], s[20:21]
	v_mul_f64 v[74:75], v[120:121], s[22:23]
	v_add_f64 v[62:63], v[62:63], v[64:65]
	s_delay_alu instid0(VALU_DEP_4) | instskip(SKIP_3) | instid1(VALU_DEP_2)
	v_add_f64 v[66:67], v[76:77], v[66:67]
	scratch_load_b64 v[76:77], off, off offset:224 ; 8-byte Folded Reload
	v_add_f64 v[78:79], v[78:79], -v[82:83]
	v_add_f64 v[60:61], v[60:61], v[62:63]
	v_add_f64 v[66:67], v[78:79], v[66:67]
	s_waitcnt vmcnt(1)
	v_add_f64 v[74:75], v[74:75], -v[80:81]
	s_delay_alu instid0(VALU_DEP_1)
	v_add_f64 v[64:65], v[74:75], v[66:67]
	scratch_load_b64 v[74:75], off, off offset:240 ; 8-byte Folded Reload
	v_mul_f64 v[66:67], v[171:172], s[36:37]
	v_add_f64 v[62:63], v[72:73], v[64:65]
	scratch_load_b64 v[72:73], off, off offset:208 ; 8-byte Folded Reload
	v_mul_f64 v[64:65], v[158:159], s[36:37]
	s_waitcnt vmcnt(2)
	v_add_f64 v[70:71], v[76:77], v[70:71]
	scratch_load_b64 v[76:77], off, off offset:160 ; 8-byte Folded Reload
	v_add_f64 v[60:61], v[70:71], v[60:61]
	s_waitcnt vmcnt(2)
	v_add_f64 v[66:67], v[74:75], v[66:67]
	s_waitcnt vmcnt(1)
	v_add_f64 v[64:65], v[64:65], -v[72:73]
	s_waitcnt vmcnt(0)
	v_add_f64 v[68:69], v[68:69], -v[76:77]
	s_delay_alu instid0(VALU_DEP_1) | instskip(NEXT) | instid1(VALU_DEP_4)
	v_add_f64 v[68:69], v[68:69], v[62:63]
	v_add_f64 v[62:63], v[66:67], v[60:61]
	s_delay_alu instid0(VALU_DEP_2) | instskip(SKIP_3) | instid1(VALU_DEP_1)
	v_add_f64 v[60:61], v[64:65], v[68:69]
	scratch_load_b32 v64, off, off          ; 4-byte Folded Reload
	s_waitcnt vmcnt(0)
	v_mul_lo_u16 v64, v64, 17
	v_and_b32_e32 v64, 0xffff, v64
	s_delay_alu instid0(VALU_DEP_1)
	v_add_lshl_u32 v64, v166, v64, 4
	ds_store_b128 v64, v[32:35] offset:32
	ds_store_b128 v64, v[36:39] offset:48
	;; [unrolled: 1-line block ×15, first 2 shown]
	ds_store_b128 v64, v[24:27]
	ds_store_b128 v64, v[0:3] offset:256
.LBB0_7:
	s_or_b32 exec_lo, exec_lo, s33
	scratch_load_b32 v21, off, off          ; 4-byte Folded Reload
	s_load_b128 s[4:7], s[4:5], 0x0
	s_waitcnt vmcnt(0) lgkmcnt(0)
	s_barrier
	buffer_gl0_inv
	s_mov_b32 s28, 0xf8bb580b
	s_mov_b32 s22, 0x43842ef
	s_mov_b32 s20, 0xbb3a28a1
	s_mov_b32 s18, 0xfd768dbf
	s_mov_b32 s29, 0xbfe14ced
	s_mov_b32 s27, 0xbfed1bb4
	s_mov_b32 s26, 0x8eee2c13
	s_mov_b32 s23, 0xbfefac9e
	s_mov_b32 s21, 0xbfe82f19
	s_mov_b32 s19, 0xbfd207e7
	s_mov_b32 s24, 0x8764f0ba
	s_mov_b32 s10, 0xd9c712b6
	s_mov_b32 s16, 0x640f44db
	s_mov_b32 s8, 0x7f775887
	s_mov_b32 s0, 0x9bcd5057
	s_mov_b32 s25, 0x3feaeb8c
	s_mov_b32 s11, 0x3fda9628
	s_mov_b32 s17, 0xbfc2375f
	s_mov_b32 s9, 0xbfe4f49e
	s_mov_b32 s1, 0xbfeeb42a
	s_mov_b32 s31, 0x3fd207e7
	s_mov_b32 s30, s18
	s_mov_b32 s35, 0x3fefac9e
	s_mov_b32 s34, s22
	s_mov_b32 s37, 0x3fe14ced
	s_mov_b32 s36, s28
	v_and_b32_e32 v20, 0xff, v21
	v_add_lshl_u32 v249, v166, v21, 4
	s_delay_alu instid0(VALU_DEP_2) | instskip(NEXT) | instid1(VALU_DEP_1)
	v_mul_lo_u16 v20, 0xf1, v20
	v_lshrrev_b16 v44, 12, v20
	s_delay_alu instid0(VALU_DEP_1) | instskip(NEXT) | instid1(VALU_DEP_1)
	v_mul_lo_u16 v20, v44, 17
	v_sub_nc_u16 v20, v21, v20
	s_delay_alu instid0(VALU_DEP_1) | instskip(NEXT) | instid1(VALU_DEP_1)
	v_and_b32_e32 v45, 0xff, v20
	v_mul_u32_u24_e32 v20, 10, v45
	s_delay_alu instid0(VALU_DEP_1)
	v_lshlrev_b32_e32 v46, 4, v20
	v_and_b32_e32 v20, 0xffff, v44
	s_clause 0x3
	global_load_b128 v[26:29], v46, s[2:3]
	global_load_b128 v[22:25], v46, s[2:3] offset:144
	global_load_b128 v[30:33], v46, s[2:3] offset:16
	;; [unrolled: 1-line block ×3, first 2 shown]
	ds_load_b128 v[40:43], v249 offset:1632
	ds_load_b128 v[36:39], v249 offset:16320
	ds_load_b128 v[47:50], v249
	v_mul_u32_u24_e32 v20, 0xbb, v20
	s_delay_alu instid0(VALU_DEP_1) | instskip(NEXT) | instid1(VALU_DEP_1)
	v_add_nc_u32_e32 v20, v20, v45
	v_add_lshl_u32 v251, v166, v20, 4
	s_waitcnt vmcnt(3) lgkmcnt(2)
	v_mul_f64 v[51:52], v[42:43], v[28:29]
	v_mul_f64 v[53:54], v[40:41], v[28:29]
	s_waitcnt vmcnt(2) lgkmcnt(1)
	v_mul_f64 v[55:56], v[36:37], v[24:25]
	v_mul_f64 v[57:58], v[38:39], v[24:25]
	s_clause 0x1
	scratch_store_b128 off, v[26:29], off offset:32
	scratch_store_b128 off, v[22:25], off offset:16
	s_waitcnt vmcnt(1)
	scratch_store_b128 off, v[30:33], off offset:48 ; 16-byte Folded Spill
	v_fma_f64 v[59:60], v[40:41], v[26:27], -v[51:52]
	v_fma_f64 v[61:62], v[42:43], v[26:27], v[53:54]
	ds_load_b128 v[40:43], v249 offset:3264
	v_fma_f64 v[63:64], v[38:39], v[22:23], v[55:56]
	v_fma_f64 v[65:66], v[36:37], v[22:23], -v[57:58]
	ds_load_b128 v[36:39], v249 offset:4896
	s_waitcnt lgkmcnt(1)
	v_mul_f64 v[51:52], v[42:43], v[32:33]
	v_add_f64 v[134:135], v[61:62], v[63:64]
	s_delay_alu instid0(VALU_DEP_2) | instskip(SKIP_1) | instid1(VALU_DEP_1)
	v_fma_f64 v[67:68], v[40:41], v[30:31], -v[51:52]
	v_mul_f64 v[40:41], v[40:41], v[32:33]
	v_fma_f64 v[69:70], v[42:43], v[30:31], v[40:41]
	ds_load_b128 v[40:43], v249 offset:14688
	ds_load_b128 v[51:54], v249 offset:13056
	s_waitcnt vmcnt(0)
	scratch_store_b128 off, v[73:76], off offset:64 ; 16-byte Folded Spill
	s_waitcnt lgkmcnt(1)
	v_mul_f64 v[55:56], v[40:41], v[75:76]
	s_delay_alu instid0(VALU_DEP_1)
	v_fma_f64 v[71:72], v[42:43], v[73:74], v[55:56]
	v_mul_f64 v[42:43], v[42:43], v[75:76]
	s_clause 0x3
	global_load_b128 v[80:83], v46, s[2:3] offset:32
	global_load_b128 v[76:79], v46, s[2:3] offset:48
	;; [unrolled: 1-line block ×4, first 2 shown]
	v_add_f64 v[169:170], v[69:70], v[71:72]
	v_fma_f64 v[73:74], v[40:41], v[73:74], -v[42:43]
	s_delay_alu instid0(VALU_DEP_1) | instskip(SKIP_2) | instid1(VALU_DEP_1)
	v_add_f64 v[164:165], v[67:68], v[73:74]
	s_waitcnt vmcnt(3)
	v_mul_f64 v[40:41], v[38:39], v[82:83]
	v_fma_f64 v[116:117], v[36:37], v[80:81], -v[40:41]
	v_mul_f64 v[36:37], v[36:37], v[82:83]
	s_delay_alu instid0(VALU_DEP_1) | instskip(SKIP_2) | instid1(VALU_DEP_1)
	v_fma_f64 v[118:119], v[38:39], v[80:81], v[36:37]
	s_waitcnt vmcnt(1) lgkmcnt(0)
	v_mul_f64 v[36:37], v[51:52], v[90:91]
	v_fma_f64 v[120:121], v[53:54], v[88:89], v[36:37]
	v_mul_f64 v[36:37], v[53:54], v[90:91]
	s_delay_alu instid0(VALU_DEP_2) | instskip(NEXT) | instid1(VALU_DEP_2)
	v_add_f64 v[179:180], v[118:119], v[120:121]
	v_fma_f64 v[122:123], v[51:52], v[88:89], -v[36:37]
	ds_load_b128 v[36:39], v249 offset:6528
	ds_load_b128 v[40:43], v249 offset:8160
	s_waitcnt lgkmcnt(1)
	v_mul_f64 v[51:52], v[38:39], v[78:79]
	v_add_f64 v[173:174], v[116:117], v[122:123]
	v_add_f64 v[177:178], v[116:117], -v[122:123]
	s_delay_alu instid0(VALU_DEP_3) | instskip(SKIP_1) | instid1(VALU_DEP_3)
	v_fma_f64 v[124:125], v[36:37], v[76:77], -v[51:52]
	v_mul_f64 v[36:37], v[36:37], v[78:79]
	v_mul_f64 v[181:182], v[177:178], s[30:31]
	;; [unrolled: 1-line block ×3, first 2 shown]
	s_delay_alu instid0(VALU_DEP_3)
	v_fma_f64 v[126:127], v[38:39], v[76:77], v[36:37]
	ds_load_b128 v[36:39], v249 offset:11424
	ds_load_b128 v[51:54], v249 offset:9792
	s_clause 0x1
	global_load_b128 v[96:99], v46, s[2:3] offset:64
	global_load_b128 v[92:95], v46, s[2:3] offset:80
	s_waitcnt vmcnt(0) lgkmcnt(0)
	s_waitcnt_vscnt null, 0x0
	s_barrier
	buffer_gl0_inv
	v_mul_f64 v[55:56], v[38:39], v[86:87]
	s_delay_alu instid0(VALU_DEP_1) | instskip(SKIP_1) | instid1(VALU_DEP_2)
	v_fma_f64 v[128:129], v[36:37], v[84:85], -v[55:56]
	v_mul_f64 v[36:37], v[36:37], v[86:87]
	v_add_f64 v[185:186], v[124:125], v[128:129]
	s_delay_alu instid0(VALU_DEP_2) | instskip(SKIP_1) | instid1(VALU_DEP_2)
	v_fma_f64 v[130:131], v[38:39], v[84:85], v[36:37]
	v_add_f64 v[189:190], v[124:125], -v[128:129]
	v_add_f64 v[183:184], v[126:127], -v[130:131]
	v_add_f64 v[191:192], v[126:127], v[130:131]
	s_delay_alu instid0(VALU_DEP_3)
	v_mul_f64 v[193:194], v[189:190], s[34:35]
	v_mul_f64 v[221:222], v[189:190], s[28:29]
	;; [unrolled: 1-line block ×7, first 2 shown]
	s_delay_alu instid0(VALU_DEP_1) | instskip(SKIP_1) | instid1(VALU_DEP_1)
	v_fma_f64 v[136:137], v[40:41], v[96:97], -v[36:37]
	v_mul_f64 v[36:37], v[40:41], v[98:99]
	v_fma_f64 v[138:139], v[42:43], v[96:97], v[36:37]
	v_mul_f64 v[36:37], v[53:54], v[94:95]
	s_delay_alu instid0(VALU_DEP_1) | instskip(SKIP_1) | instid1(VALU_DEP_2)
	v_fma_f64 v[140:141], v[51:52], v[92:93], -v[36:37]
	v_mul_f64 v[36:37], v[51:52], v[94:95]
	v_add_f64 v[197:198], v[136:137], v[140:141]
	s_delay_alu instid0(VALU_DEP_2)
	v_fma_f64 v[142:143], v[53:54], v[92:93], v[36:37]
	v_add_f64 v[36:37], v[61:62], -v[63:64]
	v_add_f64 v[53:54], v[59:60], v[65:66]
	v_add_f64 v[201:202], v[136:137], -v[140:141]
	v_add_f64 v[61:62], v[49:50], v[61:62]
	v_add_f64 v[195:196], v[138:139], -v[142:143]
	v_mul_f64 v[38:39], v[36:37], s[28:29]
	v_mul_f64 v[40:41], v[36:37], s[26:27]
	;; [unrolled: 1-line block ×5, first 2 shown]
	v_add_f64 v[203:204], v[138:139], v[142:143]
	v_mul_f64 v[205:206], v[201:202], s[36:37]
	v_mul_f64 v[225:226], v[201:202], s[20:21]
	;; [unrolled: 1-line block ×3, first 2 shown]
	v_fma_f64 v[55:56], v[53:54], s[24:25], -v[38:39]
	v_fma_f64 v[38:39], v[53:54], s[24:25], v[38:39]
	v_fma_f64 v[57:58], v[53:54], s[10:11], -v[40:41]
	v_fma_f64 v[40:41], v[53:54], s[10:11], v[40:41]
	;; [unrolled: 2-line block ×5, first 2 shown]
	v_add_f64 v[53:54], v[59:60], -v[65:66]
	v_add_f64 v[59:60], v[47:48], v[59:60]
	v_mul_f64 v[223:224], v[195:196], s[20:21]
	v_add_f64 v[55:56], v[47:48], v[55:56]
	v_add_f64 v[154:155], v[47:48], v[38:39]
	;; [unrolled: 1-line block ×4, first 2 shown]
	v_mul_f64 v[110:111], v[53:54], s[28:29]
	v_mul_f64 v[112:113], v[53:54], s[26:27]
	;; [unrolled: 1-line block ×5, first 2 shown]
	v_fma_f64 v[152:153], v[134:135], s[24:25], -v[110:111]
	v_fma_f64 v[110:111], v[134:135], s[24:25], v[110:111]
	v_fma_f64 v[146:147], v[134:135], s[16:17], v[114:115]
	;; [unrolled: 1-line block ×4, first 2 shown]
	v_fma_f64 v[53:54], v[134:135], s[0:1], -v[53:54]
	v_fma_f64 v[144:145], v[134:135], s[10:11], v[112:113]
	v_fma_f64 v[112:113], v[134:135], s[10:11], -v[112:113]
	v_fma_f64 v[114:115], v[134:135], s[16:17], -v[114:115]
	;; [unrolled: 1-line block ×3, first 2 shown]
	v_add_f64 v[134:135], v[47:48], v[40:41]
	v_add_f64 v[40:41], v[47:48], v[104:105]
	;; [unrolled: 1-line block ×4, first 2 shown]
	v_add_f64 v[110:111], v[67:68], -v[73:74]
	v_add_f64 v[104:105], v[49:50], v[146:147]
	v_add_f64 v[146:147], v[49:50], v[148:149]
	;; [unrolled: 1-line block ×3, first 2 shown]
	v_add_f64 v[53:54], v[69:70], -v[71:72]
	v_add_f64 v[148:149], v[47:48], v[51:52]
	v_add_f64 v[51:52], v[47:48], v[108:109]
	;; [unrolled: 1-line block ×9, first 2 shown]
	v_mul_f64 v[171:172], v[110:111], s[20:21]
	v_mul_f64 v[213:214], v[110:111], s[26:27]
	;; [unrolled: 1-line block ×7, first 2 shown]
	s_mov_b32 s27, 0x3fed1bb4
	v_mul_f64 v[112:113], v[53:54], s[34:35]
	v_mul_f64 v[217:218], v[177:178], s[26:27]
	;; [unrolled: 1-line block ×4, first 2 shown]
	v_fma_f64 v[48:49], v[169:170], s[16:17], v[114:115]
	v_fma_f64 v[36:37], v[164:165], s[8:9], -v[167:168]
	s_delay_alu instid0(VALU_DEP_2) | instskip(NEXT) | instid1(VALU_DEP_2)
	v_add_f64 v[48:49], v[48:49], v[146:147]
	v_add_f64 v[36:37], v[36:37], v[38:39]
	v_fma_f64 v[38:39], v[169:170], s[8:9], v[171:172]
	s_delay_alu instid0(VALU_DEP_1) | instskip(SKIP_1) | instid1(VALU_DEP_1)
	v_add_f64 v[38:39], v[38:39], v[57:58]
	v_add_f64 v[57:58], v[118:119], -v[120:121]
	v_mul_f64 v[175:176], v[57:58], s[30:31]
	v_mul_f64 v[215:216], v[57:58], s[26:27]
	;; [unrolled: 1-line block ×3, first 2 shown]
	s_delay_alu instid0(VALU_DEP_3) | instskip(NEXT) | instid1(VALU_DEP_3)
	v_fma_f64 v[42:43], v[173:174], s[0:1], -v[175:176]
	v_fma_f64 v[46:47], v[173:174], s[10:11], -v[215:216]
	s_delay_alu instid0(VALU_DEP_2) | instskip(SKIP_1) | instid1(VALU_DEP_1)
	v_add_f64 v[36:37], v[42:43], v[36:37]
	v_fma_f64 v[42:43], v[179:180], s[0:1], v[181:182]
	v_add_f64 v[38:39], v[42:43], v[38:39]
	v_fma_f64 v[42:43], v[185:186], s[16:17], -v[187:188]
	s_delay_alu instid0(VALU_DEP_1) | instskip(SKIP_1) | instid1(VALU_DEP_1)
	v_add_f64 v[36:37], v[42:43], v[36:37]
	v_fma_f64 v[42:43], v[191:192], s[16:17], v[193:194]
	v_add_f64 v[38:39], v[42:43], v[38:39]
	v_fma_f64 v[42:43], v[197:198], s[24:25], -v[199:200]
	s_delay_alu instid0(VALU_DEP_1) | instskip(SKIP_1) | instid1(VALU_DEP_1)
	v_add_f64 v[36:37], v[42:43], v[36:37]
	v_fma_f64 v[42:43], v[203:204], s[24:25], v[205:206]
	v_add_f64 v[38:39], v[42:43], v[38:39]
	v_fma_f64 v[42:43], v[164:165], s[0:1], -v[207:208]
	s_delay_alu instid0(VALU_DEP_1) | instskip(SKIP_1) | instid1(VALU_DEP_2)
	v_add_f64 v[40:41], v[42:43], v[40:41]
	v_fma_f64 v[42:43], v[169:170], s[0:1], v[209:210]
	v_add_f64 v[40:41], v[46:47], v[40:41]
	s_delay_alu instid0(VALU_DEP_2) | instskip(SKIP_2) | instid1(VALU_DEP_2)
	v_add_f64 v[42:43], v[42:43], v[104:105]
	v_fma_f64 v[46:47], v[179:180], s[10:11], v[217:218]
	v_fma_f64 v[104:105], v[173:174], s[24:25], -v[146:147]
	v_add_f64 v[42:43], v[46:47], v[42:43]
	v_fma_f64 v[46:47], v[185:186], s[24:25], -v[219:220]
	s_delay_alu instid0(VALU_DEP_1) | instskip(SKIP_1) | instid1(VALU_DEP_1)
	v_add_f64 v[40:41], v[46:47], v[40:41]
	v_fma_f64 v[46:47], v[191:192], s[24:25], v[221:222]
	v_add_f64 v[42:43], v[46:47], v[42:43]
	v_fma_f64 v[46:47], v[197:198], s[8:9], -v[223:224]
	s_delay_alu instid0(VALU_DEP_1) | instskip(SKIP_1) | instid1(VALU_DEP_1)
	v_add_f64 v[40:41], v[46:47], v[40:41]
	v_fma_f64 v[46:47], v[203:204], s[8:9], v[225:226]
	v_add_f64 v[42:43], v[46:47], v[42:43]
	v_fma_f64 v[46:47], v[164:165], s[16:17], -v[112:113]
	s_delay_alu instid0(VALU_DEP_1) | instskip(SKIP_1) | instid1(VALU_DEP_2)
	v_add_f64 v[46:47], v[46:47], v[106:107]
	v_mul_f64 v[106:107], v[110:111], s[36:37]
	v_add_f64 v[46:47], v[104:105], v[46:47]
	v_fma_f64 v[104:105], v[179:180], s[24:25], v[227:228]
	s_delay_alu instid0(VALU_DEP_1) | instskip(SKIP_1) | instid1(VALU_DEP_1)
	v_add_f64 v[48:49], v[104:105], v[48:49]
	v_fma_f64 v[104:105], v[185:186], s[0:1], -v[229:230]
	v_add_f64 v[46:47], v[104:105], v[46:47]
	v_fma_f64 v[104:105], v[191:192], s[0:1], v[231:232]
	s_delay_alu instid0(VALU_DEP_1) | instskip(SKIP_1) | instid1(VALU_DEP_1)
	v_add_f64 v[48:49], v[104:105], v[48:49]
	v_fma_f64 v[104:105], v[197:198], s[10:11], -v[233:234]
	v_add_f64 v[46:47], v[104:105], v[46:47]
	v_fma_f64 v[104:105], v[203:204], s[10:11], v[235:236]
	s_delay_alu instid0(VALU_DEP_1) | instskip(SKIP_1) | instid1(VALU_DEP_1)
	v_add_f64 v[48:49], v[104:105], v[48:49]
	v_mul_f64 v[104:105], v[53:54], s[36:37]
	v_fma_f64 v[53:54], v[164:165], s[24:25], -v[104:105]
	v_fma_f64 v[104:105], v[164:165], s[24:25], v[104:105]
	s_delay_alu instid0(VALU_DEP_2) | instskip(SKIP_1) | instid1(VALU_DEP_3)
	v_add_f64 v[50:51], v[53:54], v[51:52]
	v_fma_f64 v[52:53], v[169:170], s[24:25], v[106:107]
	v_add_f64 v[104:105], v[104:105], v[150:151]
	v_fma_f64 v[106:107], v[169:170], s[24:25], -v[106:107]
	s_delay_alu instid0(VALU_DEP_3) | instskip(SKIP_1) | instid1(VALU_DEP_3)
	v_add_f64 v[52:53], v[52:53], v[108:109]
	v_mul_f64 v[108:109], v[57:58], s[20:21]
	v_add_f64 v[106:107], v[106:107], v[156:157]
	s_delay_alu instid0(VALU_DEP_2) | instskip(SKIP_1) | instid1(VALU_DEP_2)
	v_fma_f64 v[110:111], v[173:174], s[8:9], -v[108:109]
	v_fma_f64 v[108:109], v[173:174], s[8:9], v[108:109]
	v_add_f64 v[50:51], v[110:111], v[50:51]
	v_mul_f64 v[110:111], v[177:178], s[20:21]
	s_delay_alu instid0(VALU_DEP_3) | instskip(NEXT) | instid1(VALU_DEP_2)
	v_add_f64 v[104:105], v[108:109], v[104:105]
	v_fma_f64 v[237:238], v[179:180], s[8:9], v[110:111]
	v_fma_f64 v[108:109], v[179:180], s[8:9], -v[110:111]
	s_delay_alu instid0(VALU_DEP_2) | instskip(SKIP_1) | instid1(VALU_DEP_3)
	v_add_f64 v[52:53], v[237:238], v[52:53]
	v_mul_f64 v[237:238], v[183:184], s[26:27]
	v_add_f64 v[106:107], v[108:109], v[106:107]
	s_delay_alu instid0(VALU_DEP_2) | instskip(SKIP_1) | instid1(VALU_DEP_2)
	v_fma_f64 v[239:240], v[185:186], s[10:11], -v[237:238]
	v_fma_f64 v[108:109], v[185:186], s[10:11], v[237:238]
	v_add_f64 v[50:51], v[239:240], v[50:51]
	v_mul_f64 v[239:240], v[189:190], s[26:27]
	s_delay_alu instid0(VALU_DEP_3) | instskip(NEXT) | instid1(VALU_DEP_2)
	v_add_f64 v[104:105], v[108:109], v[104:105]
	v_fma_f64 v[241:242], v[191:192], s[10:11], v[239:240]
	v_fma_f64 v[108:109], v[191:192], s[10:11], -v[239:240]
	s_delay_alu instid0(VALU_DEP_2) | instskip(SKIP_1) | instid1(VALU_DEP_3)
	v_add_f64 v[52:53], v[241:242], v[52:53]
	v_mul_f64 v[241:242], v[195:196], s[22:23]
	v_add_f64 v[106:107], v[108:109], v[106:107]
	s_delay_alu instid0(VALU_DEP_2) | instskip(SKIP_1) | instid1(VALU_DEP_2)
	v_fma_f64 v[243:244], v[197:198], s[16:17], -v[241:242]
	v_fma_f64 v[108:109], v[197:198], s[16:17], v[241:242]
	v_add_f64 v[50:51], v[243:244], v[50:51]
	v_mul_f64 v[243:244], v[201:202], s[22:23]
	s_delay_alu instid0(VALU_DEP_3)
	v_add_f64 v[104:105], v[108:109], v[104:105]
	v_fma_f64 v[108:109], v[164:165], s[16:17], v[112:113]
	v_fma_f64 v[112:113], v[173:174], s[24:25], v[146:147]
	v_fma_f64 v[146:147], v[203:204], s[24:25], -v[205:206]
	v_fma_f64 v[110:111], v[203:204], s[16:17], -v[243:244]
	v_fma_f64 v[245:246], v[203:204], s[16:17], v[243:244]
	v_add_f64 v[108:109], v[108:109], v[148:149]
	v_mul_f64 v[148:149], v[177:178], s[22:23]
	s_delay_alu instid0(VALU_DEP_4) | instskip(SKIP_1) | instid1(VALU_DEP_4)
	v_add_f64 v[106:107], v[110:111], v[106:107]
	v_fma_f64 v[110:111], v[169:170], s[16:17], -v[114:115]
	v_add_f64 v[108:109], v[112:113], v[108:109]
	v_fma_f64 v[112:113], v[179:180], s[24:25], -v[227:228]
	v_fma_f64 v[114:115], v[203:204], s[10:11], -v[235:236]
	v_add_f64 v[52:53], v[245:246], v[52:53]
	v_add_f64 v[110:111], v[110:111], v[132:133]
	v_fma_f64 v[132:133], v[173:174], s[10:11], v[215:216]
	s_delay_alu instid0(VALU_DEP_2) | instskip(SKIP_1) | instid1(VALU_DEP_1)
	v_add_f64 v[110:111], v[112:113], v[110:111]
	v_fma_f64 v[112:113], v[185:186], s[0:1], v[229:230]
	v_add_f64 v[108:109], v[112:113], v[108:109]
	v_fma_f64 v[112:113], v[191:192], s[0:1], -v[231:232]
	s_delay_alu instid0(VALU_DEP_1) | instskip(SKIP_1) | instid1(VALU_DEP_2)
	v_add_f64 v[110:111], v[112:113], v[110:111]
	v_fma_f64 v[112:113], v[197:198], s[10:11], v[233:234]
	v_add_f64 v[114:115], v[114:115], v[110:111]
	s_delay_alu instid0(VALU_DEP_2) | instskip(SKIP_2) | instid1(VALU_DEP_2)
	v_add_f64 v[112:113], v[112:113], v[108:109]
	v_fma_f64 v[108:109], v[164:165], s[0:1], v[207:208]
	v_fma_f64 v[110:111], v[169:170], s[0:1], -v[209:210]
	v_add_f64 v[108:109], v[108:109], v[144:145]
	s_delay_alu instid0(VALU_DEP_2) | instskip(SKIP_2) | instid1(VALU_DEP_4)
	v_add_f64 v[110:111], v[110:111], v[158:159]
	v_fma_f64 v[144:145], v[203:204], s[8:9], -v[225:226]
	v_mul_f64 v[158:159], v[201:202], s[18:19]
	v_add_f64 v[108:109], v[132:133], v[108:109]
	v_fma_f64 v[132:133], v[179:180], s[10:11], -v[217:218]
	s_delay_alu instid0(VALU_DEP_1) | instskip(SKIP_1) | instid1(VALU_DEP_1)
	v_add_f64 v[110:111], v[132:133], v[110:111]
	v_fma_f64 v[132:133], v[185:186], s[24:25], v[219:220]
	v_add_f64 v[108:109], v[132:133], v[108:109]
	v_fma_f64 v[132:133], v[191:192], s[24:25], -v[221:222]
	s_delay_alu instid0(VALU_DEP_1) | instskip(SKIP_1) | instid1(VALU_DEP_2)
	v_add_f64 v[110:111], v[132:133], v[110:111]
	v_fma_f64 v[132:133], v[197:198], s[8:9], v[223:224]
	v_add_f64 v[110:111], v[144:145], v[110:111]
	s_delay_alu instid0(VALU_DEP_2) | instskip(SKIP_2) | instid1(VALU_DEP_2)
	v_add_f64 v[108:109], v[132:133], v[108:109]
	v_fma_f64 v[132:133], v[164:165], s[8:9], v[167:168]
	v_fma_f64 v[144:145], v[173:174], s[0:1], v[175:176]
	v_add_f64 v[132:133], v[132:133], v[134:135]
	v_fma_f64 v[134:135], v[169:170], s[8:9], -v[171:172]
	s_delay_alu instid0(VALU_DEP_2) | instskip(NEXT) | instid1(VALU_DEP_2)
	v_add_f64 v[132:133], v[144:145], v[132:133]
	v_add_f64 v[134:135], v[134:135], v[160:161]
	v_fma_f64 v[144:145], v[179:180], s[0:1], -v[181:182]
	s_delay_alu instid0(VALU_DEP_1) | instskip(SKIP_1) | instid1(VALU_DEP_1)
	v_add_f64 v[134:135], v[144:145], v[134:135]
	v_fma_f64 v[144:145], v[185:186], s[16:17], v[187:188]
	v_add_f64 v[132:133], v[144:145], v[132:133]
	v_fma_f64 v[144:145], v[191:192], s[16:17], -v[193:194]
	s_delay_alu instid0(VALU_DEP_1) | instskip(SKIP_1) | instid1(VALU_DEP_2)
	v_add_f64 v[134:135], v[144:145], v[134:135]
	v_fma_f64 v[144:145], v[197:198], s[24:25], v[199:200]
	v_add_f64 v[134:135], v[146:147], v[134:135]
	v_mul_f64 v[146:147], v[57:58], s[22:23]
	v_add_f64 v[58:59], v[59:60], v[67:68]
	v_add_f64 v[60:61], v[61:62], v[69:70]
	;; [unrolled: 1-line block ×3, first 2 shown]
	v_fma_f64 v[144:145], v[164:165], s[10:11], -v[211:212]
	v_fma_f64 v[68:69], v[179:180], s[16:17], -v[148:149]
	v_add_f64 v[58:59], v[58:59], v[116:117]
	v_add_f64 v[60:61], v[60:61], v[118:119]
	s_delay_alu instid0(VALU_DEP_4) | instskip(SKIP_4) | instid1(VALU_DEP_4)
	v_add_f64 v[54:55], v[144:145], v[55:56]
	v_fma_f64 v[144:145], v[169:170], s[10:11], v[213:214]
	v_fma_f64 v[56:57], v[173:174], s[16:17], -v[146:147]
	v_add_f64 v[58:59], v[58:59], v[124:125]
	v_add_f64 v[60:61], v[60:61], v[126:127]
	;; [unrolled: 1-line block ×3, first 2 shown]
	s_delay_alu instid0(VALU_DEP_4) | instskip(SKIP_3) | instid1(VALU_DEP_3)
	v_add_f64 v[54:55], v[56:57], v[54:55]
	v_fma_f64 v[56:57], v[179:180], s[16:17], v[148:149]
	v_add_f64 v[58:59], v[58:59], v[136:137]
	v_add_f64 v[60:61], v[60:61], v[138:139]
	;; [unrolled: 1-line block ×3, first 2 shown]
	v_mul_f64 v[144:145], v[183:184], s[20:21]
	s_delay_alu instid0(VALU_DEP_4) | instskip(NEXT) | instid1(VALU_DEP_4)
	v_add_f64 v[58:59], v[58:59], v[140:141]
	v_add_f64 v[60:61], v[60:61], v[142:143]
	s_delay_alu instid0(VALU_DEP_3) | instskip(NEXT) | instid1(VALU_DEP_3)
	v_fma_f64 v[150:151], v[185:186], s[8:9], -v[144:145]
	v_add_f64 v[58:59], v[58:59], v[128:129]
	s_delay_alu instid0(VALU_DEP_3) | instskip(NEXT) | instid1(VALU_DEP_3)
	v_add_f64 v[60:61], v[60:61], v[130:131]
	v_add_f64 v[54:55], v[150:151], v[54:55]
	v_mul_f64 v[150:151], v[189:190], s[20:21]
	s_delay_alu instid0(VALU_DEP_4) | instskip(NEXT) | instid1(VALU_DEP_4)
	v_add_f64 v[58:59], v[58:59], v[122:123]
	v_add_f64 v[60:61], v[60:61], v[120:121]
	s_delay_alu instid0(VALU_DEP_3) | instskip(NEXT) | instid1(VALU_DEP_3)
	v_fma_f64 v[156:157], v[191:192], s[8:9], v[150:151]
	v_add_f64 v[58:59], v[58:59], v[73:74]
	s_delay_alu instid0(VALU_DEP_3)
	v_add_f64 v[60:61], v[60:61], v[71:72]
	v_fma_f64 v[70:71], v[185:186], s[8:9], v[144:145]
	v_fma_f64 v[72:73], v[191:192], s[8:9], -v[150:151]
	v_add_f64 v[56:57], v[156:157], v[56:57]
	v_mul_f64 v[156:157], v[195:196], s[18:19]
	v_add_f64 v[58:59], v[58:59], v[65:66]
	v_add_f64 v[60:61], v[60:61], v[63:64]
	v_fma_f64 v[62:63], v[164:165], s[10:11], v[211:212]
	v_fma_f64 v[64:65], v[169:170], s[10:11], -v[213:214]
	v_fma_f64 v[66:67], v[173:174], s[16:17], v[146:147]
	v_fma_f64 v[160:161], v[197:198], s[0:1], -v[156:157]
	s_delay_alu instid0(VALU_DEP_4) | instskip(NEXT) | instid1(VALU_DEP_4)
	v_add_f64 v[62:63], v[62:63], v[154:155]
	v_add_f64 v[64:65], v[64:65], v[152:153]
	s_delay_alu instid0(VALU_DEP_3) | instskip(SKIP_1) | instid1(VALU_DEP_4)
	v_add_f64 v[54:55], v[160:161], v[54:55]
	v_fma_f64 v[160:161], v[203:204], s[0:1], v[158:159]
	v_add_f64 v[62:63], v[66:67], v[62:63]
	s_delay_alu instid0(VALU_DEP_4)
	v_add_f64 v[64:65], v[68:69], v[64:65]
	v_fma_f64 v[66:67], v[197:198], s[0:1], v[156:157]
	v_fma_f64 v[68:69], v[203:204], s[0:1], -v[158:159]
	v_cmp_gt_u16_e64 s0, 0x55, v21
	v_add_f64 v[56:57], v[160:161], v[56:57]
	ds_store_b128 v251, v[36:39] offset:544
	ds_store_b128 v251, v[40:43] offset:816
	;; [unrolled: 1-line block ×5, first 2 shown]
	ds_store_b128 v251, v[58:61]
	v_add_f64 v[62:63], v[70:71], v[62:63]
	v_add_f64 v[64:65], v[72:73], v[64:65]
	s_delay_alu instid0(VALU_DEP_2) | instskip(NEXT) | instid1(VALU_DEP_2)
	v_add_f64 v[116:117], v[66:67], v[62:63]
	v_add_f64 v[118:119], v[68:69], v[64:65]
	ds_store_b128 v251, v[104:107] offset:1632
	ds_store_b128 v251, v[112:115] offset:1904
	ds_store_b128 v251, v[108:111] offset:2176
	ds_store_b128 v251, v[132:135] offset:2448
	ds_store_b128 v251, v[116:119] offset:2720
	s_waitcnt lgkmcnt(0)
	s_barrier
	buffer_gl0_inv
	ds_load_b128 v[120:123], v249
	ds_load_b128 v[136:139], v249 offset:2992
	ds_load_b128 v[124:127], v249 offset:5984
	;; [unrolled: 1-line block ×5, first 2 shown]
	s_and_saveexec_b32 s1, s0
	s_cbranch_execz .LBB0_9
; %bb.8:
	ds_load_b128 v[104:107], v249 offset:1632
	ds_load_b128 v[112:115], v249 offset:4624
	;; [unrolled: 1-line block ×6, first 2 shown]
.LBB0_9:
	s_or_b32 exec_lo, exec_lo, s1
	scratch_load_b32 v22, off, off          ; 4-byte Folded Reload
	s_mov_b32 s9, 0xbfebb67a
	s_waitcnt vmcnt(0)
	v_add_nc_u32_e32 v20, 0x66, v22
	v_add_nc_u32_e32 v21, 0xffffffab, v22
	v_mad_u64_u32 v[44:45], null, 0x50, v22, s[2:3]
	s_delay_alu instid0(VALU_DEP_2)
	v_cndmask_b32_e64 v20, v21, v20, s0
	s_clause 0x1
	global_load_b128 v[31:34], v[44:45], off offset:2752
	global_load_b128 v[35:38], v[44:45], off offset:2784
	v_mul_i32_i24_e32 v21, 0x50, v20
	v_mul_hi_i32_i24_e32 v20, 0x50, v20
	s_delay_alu instid0(VALU_DEP_2) | instskip(NEXT) | instid1(VALU_DEP_1)
	v_add_co_u32 v46, s1, s2, v21
	v_add_co_ci_u32_e64 v47, s1, s3, v20, s1
	s_mov_b32 s2, 0xe8584caa
	s_clause 0x7
	global_load_b128 v[224:227], v[46:47], off offset:2752
	global_load_b128 v[27:30], v[46:47], off offset:2784
	;; [unrolled: 1-line block ×8, first 2 shown]
	scratch_load_b32 v20, off, off offset:12 ; 4-byte Folded Reload
	s_mov_b32 s3, 0x3febb67a
	s_mov_b32 s8, s2
	s_waitcnt vmcnt(10) lgkmcnt(2)
	v_mul_f64 v[148:149], v[142:143], v[33:34]
	v_mul_f64 v[150:151], v[140:141], v[33:34]
	s_waitcnt vmcnt(9) lgkmcnt(0)
	v_mul_f64 v[152:153], v[144:145], v[37:38]
	v_mul_f64 v[154:155], v[146:147], v[37:38]
	s_clause 0x1
	scratch_store_b128 off, v[31:34], off offset:80
	scratch_store_b128 off, v[35:38], off offset:96
	s_waitcnt vmcnt(8)
	v_mul_f64 v[156:157], v[134:135], v[226:227]
	v_mul_f64 v[158:159], v[132:133], v[226:227]
	s_waitcnt vmcnt(7)
	v_mul_f64 v[160:161], v[100:101], v[29:30]
	v_mul_f64 v[162:163], v[102:103], v[29:30]
	;; [unrolled: 3-line block ×3, first 2 shown]
	scratch_store_b128 off, v[27:30], off offset:176 ; 16-byte Folded Spill
	s_waitcnt vmcnt(1)
	v_mul_f64 v[168:169], v[118:119], v[234:235]
	v_mul_f64 v[170:171], v[116:117], v[234:235]
	s_waitcnt vmcnt(0)
	v_lshl_add_u32 v250, v22, 4, v20
	s_clause 0x3
	scratch_store_b128 off, v[39:42], off offset:112
	scratch_store_b128 off, v[48:51], off offset:128
	;; [unrolled: 1-line block ×4, first 2 shown]
	v_fma_f64 v[140:141], v[140:141], v[31:32], -v[148:149]
	v_fma_f64 v[142:143], v[142:143], v[31:32], v[150:151]
	v_fma_f64 v[146:147], v[146:147], v[35:36], v[152:153]
	v_fma_f64 v[144:145], v[144:145], v[35:36], -v[154:155]
	v_mul_f64 v[148:149], v[114:115], v[230:231]
	v_mul_f64 v[150:151], v[112:113], v[230:231]
	;; [unrolled: 1-line block ×3, first 2 shown]
	v_fma_f64 v[132:133], v[132:133], v[224:225], -v[156:157]
	v_fma_f64 v[134:135], v[134:135], v[224:225], v[158:159]
	v_fma_f64 v[102:103], v[102:103], v[27:28], v[160:161]
	v_fma_f64 v[100:101], v[100:101], v[27:28], -v[162:163]
	v_mul_f64 v[154:155], v[124:125], v[54:55]
	v_mul_f64 v[156:157], v[130:131], v[50:51]
	;; [unrolled: 1-line block ×3, first 2 shown]
	v_fma_f64 v[136:137], v[136:137], v[39:40], -v[164:165]
	v_fma_f64 v[138:139], v[138:139], v[39:40], v[166:167]
	v_mul_f64 v[164:165], v[110:111], v[25:26]
	v_mul_f64 v[166:167], v[108:109], v[25:26]
	v_fma_f64 v[116:117], v[116:117], v[232:233], -v[168:169]
	v_fma_f64 v[118:119], v[118:119], v[232:233], v[170:171]
	v_add_f64 v[160:161], v[142:143], v[146:147]
	v_add_f64 v[162:163], v[140:141], v[144:145]
	v_fma_f64 v[112:113], v[112:113], v[228:229], -v[148:149]
	v_fma_f64 v[114:115], v[114:115], v[228:229], v[150:151]
	v_fma_f64 v[124:125], v[124:125], v[52:53], -v[152:153]
	v_add_f64 v[152:153], v[142:143], -v[146:147]
	v_add_f64 v[148:149], v[134:135], v[102:103]
	v_add_f64 v[150:151], v[132:133], v[100:101]
	v_fma_f64 v[126:127], v[126:127], v[52:53], v[154:155]
	v_fma_f64 v[128:129], v[128:129], v[48:49], -v[156:157]
	v_fma_f64 v[130:131], v[130:131], v[48:49], v[158:159]
	v_add_f64 v[154:155], v[140:141], -v[144:145]
	v_fma_f64 v[108:109], v[108:109], v[23:24], -v[164:165]
	v_fma_f64 v[110:111], v[110:111], v[23:24], v[166:167]
	v_fma_f64 v[156:157], v[160:161], -0.5, v[138:139]
	v_fma_f64 v[158:159], v[162:163], -0.5, v[136:137]
	v_add_f64 v[160:161], v[134:135], -v[102:103]
	v_add_f64 v[162:163], v[132:133], -v[100:101]
	v_add_f64 v[136:137], v[136:137], v[140:141]
	v_add_f64 v[138:139], v[138:139], v[142:143]
	v_fma_f64 v[148:149], v[148:149], -0.5, v[114:115]
	v_fma_f64 v[150:151], v[150:151], -0.5, v[112:113]
	v_add_f64 v[112:113], v[112:113], v[132:133]
	v_add_f64 v[164:165], v[124:125], v[128:129]
	;; [unrolled: 1-line block ×6, first 2 shown]
	v_fma_f64 v[168:169], v[154:155], s[8:9], v[156:157]
	v_fma_f64 v[170:171], v[152:153], s[8:9], v[158:159]
	;; [unrolled: 1-line block ×4, first 2 shown]
	v_add_f64 v[156:157], v[108:109], v[116:117]
	v_add_f64 v[158:159], v[110:111], v[118:119]
	v_add_f64 v[110:111], v[110:111], -v[118:119]
	v_fma_f64 v[172:173], v[162:163], s[8:9], v[148:149]
	v_fma_f64 v[174:175], v[160:161], s[8:9], v[150:151]
	;; [unrolled: 1-line block ×4, first 2 shown]
	v_add_f64 v[160:161], v[120:121], v[124:125]
	v_add_f64 v[162:163], v[126:127], -v[130:131]
	v_add_f64 v[126:127], v[122:123], v[126:127]
	v_fma_f64 v[120:121], v[164:165], -0.5, v[120:121]
	v_add_f64 v[124:125], v[124:125], -v[128:129]
	v_fma_f64 v[122:123], v[166:167], -0.5, v[122:123]
	v_add_f64 v[108:109], v[108:109], -v[116:117]
	v_add_f64 v[116:117], v[140:141], v[116:117]
	v_add_f64 v[118:119], v[142:143], v[118:119]
	;; [unrolled: 1-line block ×4, first 2 shown]
	v_mul_f64 v[132:133], v[168:169], s[2:3]
	v_mul_f64 v[134:135], v[170:171], -0.5
	v_mul_f64 v[164:165], v[152:153], s[8:9]
	v_mul_f64 v[166:167], v[154:155], -0.5
	v_fma_f64 v[104:105], v[156:157], -0.5, v[104:105]
	v_fma_f64 v[106:107], v[158:159], -0.5, v[106:107]
	v_mul_f64 v[156:157], v[172:173], s[2:3]
	v_mul_f64 v[158:159], v[174:175], -0.5
	v_mul_f64 v[176:177], v[150:151], s[8:9]
	v_mul_f64 v[178:179], v[148:149], -0.5
	v_add_f64 v[128:129], v[160:161], v[128:129]
	v_add_f64 v[126:127], v[126:127], v[130:131]
	;; [unrolled: 1-line block ×4, first 2 shown]
	v_fma_f64 v[112:113], v[162:163], s[2:3], v[120:121]
	v_fma_f64 v[114:115], v[162:163], s[8:9], v[120:121]
	;; [unrolled: 1-line block ×4, first 2 shown]
	v_fma_f64 v[124:125], v[152:153], 0.5, v[132:133]
	v_fma_f64 v[132:133], v[154:155], s[2:3], v[134:135]
	v_fma_f64 v[134:135], v[168:169], 0.5, v[164:165]
	v_fma_f64 v[152:153], v[170:171], s[8:9], v[166:167]
	v_fma_f64 v[154:155], v[110:111], s[2:3], v[104:105]
	;; [unrolled: 1-line block ×5, first 2 shown]
	v_fma_f64 v[108:109], v[150:151], 0.5, v[156:157]
	v_fma_f64 v[156:157], v[148:149], s[2:3], v[158:159]
	v_fma_f64 v[158:159], v[172:173], 0.5, v[176:177]
	v_fma_f64 v[164:165], v[174:175], s[8:9], v[178:179]
	v_add_f64 v[104:105], v[128:129], v[130:131]
	v_add_f64 v[106:107], v[126:127], v[136:137]
	v_add_f64 v[140:141], v[128:129], -v[130:131]
	v_add_f64 v[142:143], v[126:127], -v[136:137]
	v_add_f64 v[128:129], v[116:117], v[100:101]
	v_add_f64 v[130:131], v[118:119], v[102:103]
	v_add_f64 v[116:117], v[116:117], -v[100:101]
	v_add_f64 v[118:119], v[118:119], -v[102:103]
	v_add_f64 v[148:149], v[112:113], v[124:125]
	v_add_f64 v[144:145], v[114:115], v[132:133]
	;; [unrolled: 1-line block ×4, first 2 shown]
	v_add_f64 v[136:137], v[112:113], -v[124:125]
	v_add_f64 v[132:133], v[114:115], -v[132:133]
	;; [unrolled: 1-line block ×4, first 2 shown]
	v_add_f64 v[124:125], v[154:155], v[108:109]
	v_add_f64 v[120:121], v[110:111], v[156:157]
	;; [unrolled: 1-line block ×4, first 2 shown]
	v_add_f64 v[112:113], v[154:155], -v[108:109]
	v_add_f64 v[108:109], v[110:111], -v[156:157]
	;; [unrolled: 1-line block ×4, first 2 shown]
	ds_store_b128 v250, v[104:107]
	ds_store_b128 v250, v[148:151] offset:2992
	ds_store_b128 v250, v[144:147] offset:5984
	;; [unrolled: 1-line block ×5, first 2 shown]
	s_and_saveexec_b32 s1, s0
	s_cbranch_execz .LBB0_11
; %bb.10:
	ds_store_b128 v250, v[128:131] offset:1632
	ds_store_b128 v250, v[124:127] offset:4624
	;; [unrolled: 1-line block ×6, first 2 shown]
.LBB0_11:
	s_or_b32 exec_lo, exec_lo, s1
	s_waitcnt lgkmcnt(0)
	s_waitcnt_vscnt null, 0x0
	s_barrier
	buffer_gl0_inv
	s_and_saveexec_b32 s2, vcc_lo
	s_cbranch_execz .LBB0_13
; %bb.12:
	v_add_co_u32 v166, s1, s12, v255
	s_delay_alu instid0(VALU_DEP_1) | instskip(NEXT) | instid1(VALU_DEP_2)
	v_add_co_ci_u32_e64 v167, null, s13, 0, s1
	v_add_co_u32 v100, s1, 0x4000, v166
	s_delay_alu instid0(VALU_DEP_1) | instskip(SKIP_1) | instid1(VALU_DEP_1)
	v_add_co_ci_u32_e64 v101, s1, 0, v167, s1
	v_add_co_u32 v160, s1, 0x4620, v166
	v_add_co_ci_u32_e64 v161, s1, 0, v167, s1
	global_load_b128 v[156:159], v[100:101], off offset:1568
	v_add_co_u32 v164, s1, 0x5000, v166
	s_clause 0x2
	global_load_b128 v[152:155], v[160:161], off offset:1056
	global_load_b128 v[100:103], v[160:161], off offset:2112
	;; [unrolled: 1-line block ×3, first 2 shown]
	v_add_co_ci_u32_e64 v165, s1, 0, v167, s1
	s_clause 0x1
	global_load_b128 v[168:171], v[164:165], off offset:1696
	global_load_b128 v[172:175], v[164:165], off offset:2752
	ds_load_b128 v[176:179], v250
	ds_load_b128 v[180:183], v250 offset:1056
	v_add_co_u32 v200, s1, 0x6000, v166
	s_delay_alu instid0(VALU_DEP_1) | instskip(SKIP_3) | instid1(VALU_DEP_2)
	v_add_co_ci_u32_e64 v201, s1, 0, v167, s1
	s_waitcnt vmcnt(5) lgkmcnt(1)
	v_mul_f64 v[184:185], v[178:179], v[158:159]
	v_mul_f64 v[158:159], v[176:177], v[158:159]
	v_fma_f64 v[176:177], v[176:177], v[156:157], -v[184:185]
	s_delay_alu instid0(VALU_DEP_2)
	v_fma_f64 v[178:179], v[178:179], v[156:157], v[158:159]
	s_waitcnt vmcnt(4) lgkmcnt(0)
	v_mul_f64 v[158:159], v[182:183], v[154:155]
	v_mul_f64 v[184:185], v[180:181], v[154:155]
	ds_load_b128 v[154:157], v250 offset:2112
	v_fma_f64 v[180:181], v[180:181], v[152:153], -v[158:159]
	v_fma_f64 v[182:183], v[182:183], v[152:153], v[184:185]
	ds_load_b128 v[184:187], v250 offset:3168
	s_waitcnt vmcnt(3) lgkmcnt(1)
	v_mul_f64 v[152:153], v[156:157], v[102:103]
	v_mul_f64 v[102:103], v[154:155], v[102:103]
	s_waitcnt vmcnt(2) lgkmcnt(0)
	v_mul_f64 v[158:159], v[184:185], v[162:163]
	s_delay_alu instid0(VALU_DEP_3) | instskip(NEXT) | instid1(VALU_DEP_3)
	v_fma_f64 v[152:153], v[154:155], v[100:101], -v[152:153]
	v_fma_f64 v[154:155], v[156:157], v[100:101], v[102:103]
	v_mul_f64 v[156:157], v[186:187], v[162:163]
	ds_load_b128 v[100:103], v250 offset:4224
	v_fma_f64 v[158:159], v[186:187], v[160:161], v[158:159]
	v_fma_f64 v[156:157], v[184:185], v[160:161], -v[156:157]
	ds_load_b128 v[160:163], v250 offset:5280
	s_waitcnt vmcnt(1) lgkmcnt(1)
	v_mul_f64 v[184:185], v[102:103], v[170:171]
	v_mul_f64 v[170:171], v[100:101], v[170:171]
	s_delay_alu instid0(VALU_DEP_2) | instskip(NEXT) | instid1(VALU_DEP_2)
	v_fma_f64 v[100:101], v[100:101], v[168:169], -v[184:185]
	v_fma_f64 v[102:103], v[102:103], v[168:169], v[170:171]
	global_load_b128 v[168:171], v[164:165], off offset:3808
	s_waitcnt vmcnt(1) lgkmcnt(0)
	v_mul_f64 v[164:165], v[162:163], v[174:175]
	v_mul_f64 v[174:175], v[160:161], v[174:175]
	s_delay_alu instid0(VALU_DEP_2) | instskip(NEXT) | instid1(VALU_DEP_2)
	v_fma_f64 v[160:161], v[160:161], v[172:173], -v[164:165]
	v_fma_f64 v[162:163], v[162:163], v[172:173], v[174:175]
	global_load_b128 v[172:175], v[200:201], off offset:768
	ds_load_b128 v[184:187], v250 offset:6336
	ds_load_b128 v[188:191], v250 offset:7392
	s_waitcnt vmcnt(1) lgkmcnt(1)
	v_mul_f64 v[164:165], v[186:187], v[170:171]
	v_mul_f64 v[170:171], v[184:185], v[170:171]
	s_delay_alu instid0(VALU_DEP_2) | instskip(NEXT) | instid1(VALU_DEP_2)
	v_fma_f64 v[184:185], v[184:185], v[168:169], -v[164:165]
	v_fma_f64 v[186:187], v[186:187], v[168:169], v[170:171]
	s_waitcnt vmcnt(0) lgkmcnt(0)
	v_mul_f64 v[164:165], v[190:191], v[174:175]
	v_mul_f64 v[170:171], v[188:189], v[174:175]
	s_delay_alu instid0(VALU_DEP_2) | instskip(NEXT) | instid1(VALU_DEP_2)
	v_fma_f64 v[168:169], v[188:189], v[172:173], -v[164:165]
	v_fma_f64 v[170:171], v[190:191], v[172:173], v[170:171]
	s_clause 0x1
	global_load_b128 v[172:175], v[200:201], off offset:1824
	global_load_b128 v[188:191], v[200:201], off offset:2880
	ds_load_b128 v[192:195], v250 offset:8448
	ds_load_b128 v[196:199], v250 offset:9504
	s_waitcnt vmcnt(1) lgkmcnt(1)
	v_mul_f64 v[164:165], v[194:195], v[174:175]
	v_mul_f64 v[174:175], v[192:193], v[174:175]
	s_delay_alu instid0(VALU_DEP_2) | instskip(SKIP_2) | instid1(VALU_DEP_3)
	v_fma_f64 v[192:193], v[192:193], v[172:173], -v[164:165]
	s_waitcnt vmcnt(0) lgkmcnt(0)
	v_mul_f64 v[164:165], v[198:199], v[190:191]
	v_fma_f64 v[194:195], v[194:195], v[172:173], v[174:175]
	v_mul_f64 v[174:175], v[196:197], v[190:191]
	s_delay_alu instid0(VALU_DEP_3) | instskip(SKIP_1) | instid1(VALU_DEP_1)
	v_fma_f64 v[172:173], v[196:197], v[188:189], -v[164:165]
	v_add_co_u32 v164, s1, 0x7000, v166
	v_add_co_ci_u32_e64 v165, s1, 0, v167, s1
	s_delay_alu instid0(VALU_DEP_4)
	v_fma_f64 v[174:175], v[198:199], v[188:189], v[174:175]
	s_clause 0x1
	global_load_b128 v[188:191], v[200:201], off offset:3936
	global_load_b128 v[196:199], v[164:165], off offset:896
	ds_load_b128 v[200:203], v250 offset:10560
	ds_load_b128 v[204:207], v250 offset:11616
	v_add_co_u32 v220, s1, 0x8000, v166
	s_delay_alu instid0(VALU_DEP_1) | instskip(SKIP_3) | instid1(VALU_DEP_2)
	v_add_co_ci_u32_e64 v221, s1, 0, v167, s1
	s_waitcnt vmcnt(1) lgkmcnt(1)
	v_mul_f64 v[208:209], v[202:203], v[190:191]
	v_mul_f64 v[190:191], v[200:201], v[190:191]
	v_fma_f64 v[200:201], v[200:201], v[188:189], -v[208:209]
	s_delay_alu instid0(VALU_DEP_2) | instskip(SKIP_3) | instid1(VALU_DEP_2)
	v_fma_f64 v[202:203], v[202:203], v[188:189], v[190:191]
	s_waitcnt vmcnt(0) lgkmcnt(0)
	v_mul_f64 v[188:189], v[206:207], v[198:199]
	v_mul_f64 v[190:191], v[204:205], v[198:199]
	v_fma_f64 v[188:189], v[204:205], v[196:197], -v[188:189]
	s_delay_alu instid0(VALU_DEP_2)
	v_fma_f64 v[190:191], v[206:207], v[196:197], v[190:191]
	s_clause 0x1
	global_load_b128 v[196:199], v[164:165], off offset:1952
	global_load_b128 v[204:207], v[164:165], off offset:3008
	ds_load_b128 v[208:211], v250 offset:12672
	ds_load_b128 v[212:215], v250 offset:13728
	s_waitcnt vmcnt(1) lgkmcnt(1)
	v_mul_f64 v[216:217], v[210:211], v[198:199]
	v_mul_f64 v[198:199], v[208:209], v[198:199]
	s_delay_alu instid0(VALU_DEP_2) | instskip(NEXT) | instid1(VALU_DEP_2)
	v_fma_f64 v[208:209], v[208:209], v[196:197], -v[216:217]
	v_fma_f64 v[210:211], v[210:211], v[196:197], v[198:199]
	s_waitcnt vmcnt(0) lgkmcnt(0)
	v_mul_f64 v[196:197], v[214:215], v[206:207]
	v_mul_f64 v[198:199], v[212:213], v[206:207]
	s_delay_alu instid0(VALU_DEP_2) | instskip(NEXT) | instid1(VALU_DEP_2)
	v_fma_f64 v[196:197], v[212:213], v[204:205], -v[196:197]
	v_fma_f64 v[198:199], v[214:215], v[204:205], v[198:199]
	s_clause 0x1
	global_load_b128 v[164:167], v[164:165], off offset:4064
	global_load_b128 v[204:207], v[220:221], off offset:1024
	ds_load_b128 v[212:215], v250 offset:14784
	ds_load_b128 v[216:219], v250 offset:15840
	s_waitcnt vmcnt(1) lgkmcnt(1)
	v_mul_f64 v[222:223], v[214:215], v[166:167]
	v_mul_f64 v[166:167], v[212:213], v[166:167]
	s_delay_alu instid0(VALU_DEP_2) | instskip(NEXT) | instid1(VALU_DEP_2)
	v_fma_f64 v[212:213], v[212:213], v[164:165], -v[222:223]
	v_fma_f64 v[214:215], v[214:215], v[164:165], v[166:167]
	s_waitcnt vmcnt(0) lgkmcnt(0)
	v_mul_f64 v[164:165], v[218:219], v[206:207]
	v_mul_f64 v[166:167], v[216:217], v[206:207]
	s_delay_alu instid0(VALU_DEP_2) | instskip(NEXT) | instid1(VALU_DEP_2)
	v_fma_f64 v[164:165], v[216:217], v[204:205], -v[164:165]
	v_fma_f64 v[166:167], v[218:219], v[204:205], v[166:167]
	global_load_b128 v[204:207], v[220:221], off offset:2080
	ds_load_b128 v[216:219], v250 offset:16896
	s_waitcnt vmcnt(0) lgkmcnt(0)
	v_mul_f64 v[220:221], v[218:219], v[206:207]
	v_mul_f64 v[206:207], v[216:217], v[206:207]
	s_delay_alu instid0(VALU_DEP_2) | instskip(NEXT) | instid1(VALU_DEP_2)
	v_fma_f64 v[216:217], v[216:217], v[204:205], -v[220:221]
	v_fma_f64 v[218:219], v[218:219], v[204:205], v[206:207]
	ds_store_b128 v250, v[176:179]
	ds_store_b128 v250, v[180:183] offset:1056
	ds_store_b128 v250, v[152:155] offset:2112
	;; [unrolled: 1-line block ×16, first 2 shown]
.LBB0_13:
	s_or_b32 exec_lo, exec_lo, s2
	s_waitcnt lgkmcnt(0)
	s_barrier
	buffer_gl0_inv
	s_and_saveexec_b32 s1, vcc_lo
	s_cbranch_execz .LBB0_15
; %bb.14:
	ds_load_b128 v[104:107], v250
	ds_load_b128 v[148:151], v250 offset:1056
	ds_load_b128 v[144:147], v250 offset:2112
	;; [unrolled: 1-line block ×16, first 2 shown]
.LBB0_15:
	s_or_b32 exec_lo, exec_lo, s1
	s_waitcnt lgkmcnt(0)
	v_add_f64 v[239:240], v[150:151], -v[2:3]
	s_mov_b32 s10, 0x6c9a05f6
	s_mov_b32 s11, 0xbfe9895b
	v_add_f64 v[237:238], v[148:149], v[0:1]
	v_add_f64 v[56:57], v[146:147], -v[6:7]
	s_mov_b32 s2, 0x6ed5f1bb
	s_mov_b32 s22, 0x923c349f
	;; [unrolled: 1-line block ×4, first 2 shown]
	v_add_f64 v[48:49], v[144:145], v[4:5]
	v_add_f64 v[243:244], v[150:151], v[2:3]
	s_mov_b32 s8, 0xc61f0d01
	s_mov_b32 s9, 0xbfd183b1
	v_add_f64 v[245:246], v[148:149], -v[0:1]
	v_add_f64 v[42:43], v[146:147], v[6:7]
	v_add_f64 v[60:61], v[144:145], -v[4:5]
	v_add_f64 v[44:45], v[142:143], v[10:11]
	s_mov_b32 s16, 0x370991
	s_mov_b32 s17, 0x3fedd6d0
	v_add_f64 v[58:59], v[142:143], -v[10:11]
	v_add_f64 v[64:65], v[140:141], -v[8:9]
	v_add_f64 v[46:47], v[138:139], v[14:15]
	s_mov_b32 s28, 0x5d8e7cdc
	s_mov_b32 s18, 0x910ea3b9
	;; [unrolled: 1-line block ×4, first 2 shown]
	v_add_f64 v[52:53], v[140:141], v[8:9]
	v_add_f64 v[62:63], v[138:139], -v[14:15]
	v_add_f64 v[40:41], v[136:137], -v[12:13]
	s_mov_b32 s36, 0x4363dd80
	s_mov_b32 s20, 0x3259b75e
	;; [unrolled: 1-line block ×4, first 2 shown]
	v_add_f64 v[74:75], v[136:137], v[12:13]
	v_add_f64 v[66:67], v[134:135], -v[18:19]
	v_add_f64 v[72:73], v[132:133], -v[16:17]
	v_add_f64 v[54:55], v[130:131], v[110:111]
	s_mov_b32 s34, 0xeb564b22
	v_mul_f64 v[241:242], v[239:240], s[10:11]
	s_mov_b32 s24, 0x75d4884
	s_mov_b32 s35, 0x3fefdd0d
	;; [unrolled: 1-line block ×3, first 2 shown]
	v_mul_f64 v[20:21], v[56:57], s[22:23]
	v_add_f64 v[152:153], v[132:133], v[16:17]
	v_add_f64 v[38:39], v[130:131], -v[110:111]
	v_add_f64 v[22:23], v[128:129], -v[108:109]
	v_add_f64 v[68:69], v[126:127], v[114:115]
	s_mov_b32 s40, 0x2a9d6da3
	v_mul_f64 v[36:37], v[243:244], s[2:3]
	s_mov_b32 s26, 0x7faef3
	s_mov_b32 s41, 0xbfe58eea
	;; [unrolled: 1-line block ×3, first 2 shown]
	v_mul_f64 v[26:27], v[42:43], s[8:9]
	v_add_f64 v[32:33], v[126:127], -v[114:115]
	v_mul_f64 v[154:155], v[44:45], s[16:17]
	v_add_f64 v[34:35], v[124:125], -v[112:113]
	v_add_f64 v[24:25], v[122:123], -v[118:119]
	v_mul_f64 v[28:29], v[58:59], s[28:29]
	s_mov_b32 s42, 0x7c9e640b
	v_mul_f64 v[183:184], v[46:47], s[18:19]
	s_mov_b32 s43, 0x3feca52d
	s_mov_b32 s30, 0x2b2883cd
	;; [unrolled: 1-line block ×3, first 2 shown]
	v_add_f64 v[70:71], v[122:123], v[118:119]
	v_add_f64 v[30:31], v[120:121], -v[116:117]
	s_barrier
	buffer_gl0_inv
	v_mul_f64 v[191:192], v[54:55], s[24:25]
	v_fma_f64 v[100:101], v[237:238], s[2:3], -v[241:242]
	v_fma_f64 v[102:103], v[48:49], s[8:9], -v[20:21]
	v_mul_f64 v[185:186], v[38:39], s[40:41]
	v_mul_f64 v[200:201], v[68:69], s[26:27]
	v_fma_f64 v[156:157], v[60:61], s[22:23], v[26:27]
	v_mul_f64 v[189:190], v[32:33], s[38:39]
	v_fma_f64 v[160:161], v[64:65], s[28:29], v[154:155]
	v_mul_f64 v[193:194], v[24:25], s[42:43]
	v_fma_f64 v[158:159], v[52:53], s[16:17], -v[28:29]
	v_fma_f64 v[164:165], v[40:41], s[36:37], v[183:184]
	v_fma_f64 v[175:176], v[22:23], s[40:41], v[191:192]
	v_add_f64 v[100:101], v[104:105], v[100:101]
	v_fma_f64 v[179:180], v[34:35], s[38:39], v[200:201]
	s_delay_alu instid0(VALU_DEP_2) | instskip(SKIP_1) | instid1(VALU_DEP_2)
	v_add_f64 v[100:101], v[102:103], v[100:101]
	v_fma_f64 v[102:103], v[245:246], s[10:11], v[36:37]
	v_add_f64 v[100:101], v[158:159], v[100:101]
	s_delay_alu instid0(VALU_DEP_2) | instskip(NEXT) | instid1(VALU_DEP_1)
	v_add_f64 v[102:103], v[106:107], v[102:103]
	v_add_f64 v[102:103], v[156:157], v[102:103]
	;; [unrolled: 1-line block ×3, first 2 shown]
	s_delay_alu instid0(VALU_DEP_2) | instskip(SKIP_1) | instid1(VALU_DEP_3)
	v_add_f64 v[102:103], v[160:161], v[102:103]
	v_mul_f64 v[160:161], v[62:63], s[36:37]
	v_mul_f64 v[187:188], v[156:157], s[20:21]
	s_delay_alu instid0(VALU_DEP_3) | instskip(NEXT) | instid1(VALU_DEP_3)
	v_add_f64 v[102:103], v[164:165], v[102:103]
	v_fma_f64 v[162:163], v[74:75], s[18:19], -v[160:161]
	v_mul_f64 v[164:165], v[66:67], s[34:35]
	s_delay_alu instid0(VALU_DEP_4) | instskip(NEXT) | instid1(VALU_DEP_3)
	v_fma_f64 v[169:170], v[72:73], s[34:35], v[187:188]
	v_add_f64 v[100:101], v[162:163], v[100:101]
	s_delay_alu instid0(VALU_DEP_3) | instskip(NEXT) | instid1(VALU_DEP_3)
	v_fma_f64 v[167:168], v[152:153], s[20:21], -v[164:165]
	v_add_f64 v[102:103], v[169:170], v[102:103]
	v_add_f64 v[169:170], v[128:129], v[108:109]
	s_delay_alu instid0(VALU_DEP_3) | instskip(NEXT) | instid1(VALU_DEP_3)
	v_add_f64 v[100:101], v[167:168], v[100:101]
	v_add_f64 v[102:103], v[175:176], v[102:103]
	s_delay_alu instid0(VALU_DEP_3) | instskip(SKIP_1) | instid1(VALU_DEP_3)
	v_fma_f64 v[173:174], v[169:170], s[24:25], -v[185:186]
	v_add_f64 v[175:176], v[124:125], v[112:113]
	v_add_f64 v[102:103], v[179:180], v[102:103]
	s_delay_alu instid0(VALU_DEP_3) | instskip(NEXT) | instid1(VALU_DEP_3)
	v_add_f64 v[100:101], v[173:174], v[100:101]
	v_fma_f64 v[177:178], v[175:176], s[26:27], -v[189:190]
	v_add_f64 v[179:180], v[120:121], v[116:117]
	s_delay_alu instid0(VALU_DEP_2) | instskip(NEXT) | instid1(VALU_DEP_2)
	v_add_f64 v[100:101], v[177:178], v[100:101]
	v_fma_f64 v[181:182], v[179:180], s[30:31], -v[193:194]
	s_delay_alu instid0(VALU_DEP_1) | instskip(SKIP_1) | instid1(VALU_DEP_1)
	v_add_f64 v[196:197], v[181:182], v[100:101]
	v_mul_f64 v[100:101], v[70:71], s[30:31]
	v_fma_f64 v[252:253], v[30:31], s[42:43], v[100:101]
	s_delay_alu instid0(VALU_DEP_1)
	v_add_f64 v[198:199], v[252:253], v[102:103]
	s_and_saveexec_b32 s1, vcc_lo
	s_cbranch_execz .LBB0_17
; %bb.16:
	v_add_f64 v[150:151], v[106:107], v[150:151]
	v_add_f64 v[148:149], v[104:105], v[148:149]
	s_mov_b32 s47, 0xbfefdd0d
	s_mov_b32 s46, s34
	;; [unrolled: 1-line block ×9, first 2 shown]
	v_mul_f64 v[215:216], v[30:31], s[34:35]
	v_mul_f64 v[217:218], v[24:25], s[34:35]
	s_mov_b32 s53, 0x3fe9895b
	s_mov_b32 s52, s10
	v_mul_f64 v[252:253], v[60:61], s[40:41]
	v_dual_mov_b32 v182, v69 :: v_dual_mov_b32 v181, v68
	v_mul_f64 v[171:172], v[58:59], s[10:11]
	v_mov_b32_e32 v166, v255
	v_mul_f64 v[254:255], v[40:41], s[38:39]
	v_mul_f64 v[247:248], v[62:63], s[38:39]
	v_dual_mov_b32 v159, v43 :: v_dual_mov_b32 v158, v42
	v_mul_f64 v[162:163], v[22:23], s[22:23]
	v_mul_f64 v[167:168], v[34:35], s[42:43]
	;; [unrolled: 1-line block ×3, first 2 shown]
	v_dual_mov_b32 v178, v55 :: v_dual_mov_b32 v177, v54
	v_mul_f64 v[205:206], v[34:35], s[46:47]
	v_mul_f64 v[203:204], v[62:63], s[50:51]
	scratch_store_b128 off, v[196:199], off offset:192 ; 16-byte Folded Spill
	v_mul_f64 v[197:198], v[22:23], s[28:29]
	v_add_f64 v[146:147], v[150:151], v[146:147]
	v_add_f64 v[144:145], v[148:149], v[144:145]
	v_fma_f64 v[50:51], v[181:182], s[30:31], -v[167:168]
	s_delay_alu instid0(VALU_DEP_3) | instskip(NEXT) | instid1(VALU_DEP_3)
	v_add_f64 v[142:143], v[146:147], v[142:143]
	v_add_f64 v[140:141], v[144:145], v[140:141]
	s_delay_alu instid0(VALU_DEP_2) | instskip(NEXT) | instid1(VALU_DEP_2)
	v_add_f64 v[138:139], v[142:143], v[138:139]
	v_add_f64 v[136:137], v[140:141], v[136:137]
	s_delay_alu instid0(VALU_DEP_2) | instskip(NEXT) | instid1(VALU_DEP_2)
	v_add_f64 v[134:135], v[138:139], v[134:135]
	v_add_f64 v[132:133], v[136:137], v[132:133]
	v_mul_f64 v[136:137], v[239:240], s[44:45]
	s_delay_alu instid0(VALU_DEP_3) | instskip(NEXT) | instid1(VALU_DEP_3)
	v_add_f64 v[130:131], v[134:135], v[130:131]
	v_add_f64 v[128:129], v[132:133], v[128:129]
	v_mul_f64 v[134:135], v[239:240], s[46:47]
	v_mul_f64 v[132:133], v[239:240], s[54:55]
	v_fma_f64 v[150:151], v[237:238], s[30:31], v[136:137]
	v_fma_f64 v[136:137], v[237:238], s[30:31], -v[136:137]
	v_add_f64 v[126:127], v[130:131], v[126:127]
	v_add_f64 v[124:125], v[128:129], v[124:125]
	v_mul_f64 v[128:129], v[239:240], s[40:41]
	v_mul_f64 v[130:131], v[239:240], s[28:29]
	v_fma_f64 v[148:149], v[237:238], s[20:21], -v[134:135]
	v_fma_f64 v[146:147], v[237:238], s[8:9], -v[132:133]
	v_fma_f64 v[132:133], v[237:238], s[8:9], v[132:133]
	v_fma_f64 v[134:135], v[237:238], s[20:21], v[134:135]
	v_add_f64 v[122:123], v[126:127], v[122:123]
	v_add_f64 v[120:121], v[124:125], v[120:121]
	v_fma_f64 v[142:143], v[237:238], s[24:25], v[128:129]
	v_fma_f64 v[128:129], v[237:238], s[24:25], -v[128:129]
	v_fma_f64 v[144:145], v[237:238], s[16:17], v[130:131]
	v_fma_f64 v[130:131], v[237:238], s[16:17], -v[130:131]
	v_mul_f64 v[124:125], v[239:240], s[38:39]
	v_mul_f64 v[126:127], v[239:240], s[36:37]
	v_add_f64 v[146:147], v[104:105], v[146:147]
	v_add_f64 v[134:135], v[104:105], v[134:135]
	;; [unrolled: 1-line block ×6, first 2 shown]
	v_fma_f64 v[138:139], v[237:238], s[26:27], -v[124:125]
	v_fma_f64 v[124:125], v[237:238], s[26:27], v[124:125]
	v_fma_f64 v[140:141], v[237:238], s[18:19], -v[126:127]
	v_fma_f64 v[126:127], v[237:238], s[18:19], v[126:127]
	v_add_f64 v[114:115], v[118:119], v[114:115]
	v_add_f64 v[112:113], v[116:117], v[112:113]
	;; [unrolled: 1-line block ×8, first 2 shown]
	s_delay_alu instid0(VALU_DEP_2) | instskip(NEXT) | instid1(VALU_DEP_2)
	v_add_f64 v[18:19], v[110:111], v[18:19]
	v_add_f64 v[16:17], v[108:109], v[16:17]
	v_mul_f64 v[108:109], v[245:246], s[44:45]
	s_delay_alu instid0(VALU_DEP_3) | instskip(NEXT) | instid1(VALU_DEP_3)
	v_add_f64 v[14:15], v[18:19], v[14:15]
	v_add_f64 v[12:13], v[16:17], v[12:13]
	v_mul_f64 v[18:19], v[245:246], s[46:47]
	v_mul_f64 v[16:17], v[245:246], s[54:55]
	v_fma_f64 v[122:123], v[243:244], s[30:31], -v[108:109]
	v_fma_f64 v[108:109], v[243:244], s[30:31], v[108:109]
	v_add_f64 v[10:11], v[14:15], v[10:11]
	v_add_f64 v[8:9], v[12:13], v[8:9]
	v_mul_f64 v[12:13], v[245:246], s[40:41]
	v_mul_f64 v[14:15], v[245:246], s[28:29]
	v_fma_f64 v[120:121], v[243:244], s[20:21], v[18:19]
	v_fma_f64 v[18:19], v[243:244], s[20:21], -v[18:19]
	v_fma_f64 v[118:119], v[243:244], s[8:9], v[16:17]
	v_fma_f64 v[16:17], v[243:244], s[8:9], -v[16:17]
	v_add_f64 v[6:7], v[10:11], v[6:7]
	v_add_f64 v[4:5], v[8:9], v[4:5]
	v_fma_f64 v[114:115], v[243:244], s[24:25], -v[12:13]
	v_fma_f64 v[12:13], v[243:244], s[24:25], v[12:13]
	v_fma_f64 v[116:117], v[243:244], s[16:17], -v[14:15]
	v_fma_f64 v[14:15], v[243:244], s[16:17], v[14:15]
	v_mul_f64 v[10:11], v[245:246], s[36:37]
	v_mul_f64 v[8:9], v[245:246], s[38:39]
	v_add_f64 v[2:3], v[6:7], v[2:3]
	v_add_f64 v[0:1], v[4:5], v[0:1]
	v_mul_f64 v[4:5], v[245:246], s[10:11]
	v_mul_f64 v[6:7], v[237:238], s[2:3]
	v_add_f64 v[114:115], v[106:107], v[114:115]
	v_add_f64 v[116:117], v[106:107], v[116:117]
	v_fma_f64 v[112:113], v[243:244], s[18:19], v[10:11]
	v_fma_f64 v[10:11], v[243:244], s[18:19], -v[10:11]
	v_fma_f64 v[110:111], v[243:244], s[26:27], v[8:9]
	v_fma_f64 v[8:9], v[243:244], s[26:27], -v[8:9]
	v_mul_f64 v[243:244], v[56:57], s[40:41]
	v_dual_mov_b32 v246, v23 :: v_dual_mov_b32 v245, v22
	s_delay_alu instid0(VALU_DEP_1)
	v_mul_f64 v[207:208], v[245:246], s[36:37]
	scratch_store_b128 off, v[0:3], off offset:208 ; 16-byte Folded Spill
	v_add_f64 v[0:1], v[106:107], v[12:13]
	v_add_f64 v[4:5], v[36:37], -v[4:5]
	v_add_f64 v[6:7], v[6:7], v[241:242]
	v_add_f64 v[12:13], v[106:107], v[118:119]
	;; [unrolled: 1-line block ×4, first 2 shown]
	v_mul_f64 v[10:11], v[60:61], s[50:51]
	v_add_f64 v[110:111], v[106:107], v[110:111]
	v_add_f64 v[8:9], v[106:107], v[8:9]
	v_mul_f64 v[36:37], v[64:65], s[10:11]
	scratch_store_b64 off, v[0:1], off offset:280 ; 8-byte Folded Spill
	v_add_f64 v[0:1], v[104:105], v[128:129]
	v_add_f64 v[239:240], v[106:107], v[4:5]
	;; [unrolled: 1-line block ×4, first 2 shown]
	v_mul_f64 v[16:17], v[56:57], s[50:51]
	v_fma_f64 v[4:5], v[42:43], s[16:17], v[10:11]
	v_fma_f64 v[10:11], v[42:43], s[16:17], -v[10:11]
	scratch_store_b64 off, v[0:1], off offset:272 ; 8-byte Folded Spill
	v_add_f64 v[0:1], v[106:107], v[14:15]
	v_add_f64 v[14:15], v[106:107], v[120:121]
	;; [unrolled: 1-line block ×5, first 2 shown]
	v_fma_f64 v[6:7], v[48:49], s[16:17], -v[16:17]
	v_add_f64 v[8:9], v[10:11], v[8:9]
	v_fma_f64 v[10:11], v[48:49], s[16:17], v[16:17]
	v_mul_f64 v[150:151], v[22:23], s[10:11]
	scratch_store_b64 off, v[0:1], off offset:248 ; 8-byte Folded Spill
	v_add_f64 v[0:1], v[104:105], v[130:131]
	v_add_f64 v[130:131], v[104:105], v[132:133]
	;; [unrolled: 1-line block ×3, first 2 shown]
	v_mul_f64 v[18:19], v[64:65], s[36:37]
	v_add_f64 v[6:7], v[6:7], v[138:139]
	v_add_f64 v[10:11], v[10:11], v[124:125]
	scratch_store_b64 off, v[0:1], off offset:240 ; 8-byte Folded Spill
	v_add_f64 v[0:1], v[104:105], v[148:149]
	v_mul_f64 v[148:149], v[38:39], s[10:11]
	v_fma_f64 v[16:17], v[44:45], s[18:19], -v[18:19]
	scratch_store_b64 off, v[0:1], off offset:320 ; 8-byte Folded Spill
	v_add_f64 v[0:1], v[106:107], v[108:109]
	v_add_f64 v[8:9], v[16:17], v[8:9]
	scratch_store_b64 off, v[0:1], off offset:312 ; 8-byte Folded Spill
	v_add_f64 v[0:1], v[104:105], v[136:137]
	v_fma_f64 v[104:105], v[44:45], s[18:19], v[18:19]
	v_fma_f64 v[18:19], v[179:180], s[20:21], v[217:218]
	scratch_store_b64 off, v[0:1], off offset:304 ; 8-byte Folded Spill
	v_add_f64 v[4:5], v[104:105], v[4:5]
	v_mul_f64 v[104:105], v[58:59], s[36:37]
	s_delay_alu instid0(VALU_DEP_1) | instskip(SKIP_2) | instid1(VALU_DEP_3)
	v_fma_f64 v[106:107], v[52:53], s[18:19], -v[104:105]
	v_fma_f64 v[16:17], v[52:53], s[18:19], v[104:105]
	v_mul_f64 v[104:105], v[60:61], s[42:43]
	v_add_f64 v[6:7], v[106:107], v[6:7]
	v_mul_f64 v[106:107], v[40:41], s[48:49]
	s_delay_alu instid0(VALU_DEP_4) | instskip(NEXT) | instid1(VALU_DEP_2)
	v_add_f64 v[10:11], v[16:17], v[10:11]
	v_fma_f64 v[108:109], v[46:47], s[24:25], v[106:107]
	v_fma_f64 v[16:17], v[46:47], s[24:25], -v[106:107]
	v_mul_f64 v[106:107], v[56:57], s[42:43]
	s_delay_alu instid0(VALU_DEP_3) | instskip(SKIP_1) | instid1(VALU_DEP_4)
	v_add_f64 v[4:5], v[108:109], v[4:5]
	v_mul_f64 v[108:109], v[62:63], s[48:49]
	v_add_f64 v[8:9], v[16:17], v[8:9]
	s_delay_alu instid0(VALU_DEP_2) | instskip(SKIP_2) | instid1(VALU_DEP_3)
	v_fma_f64 v[110:111], v[74:75], s[24:25], -v[108:109]
	v_fma_f64 v[16:17], v[74:75], s[24:25], v[108:109]
	v_mul_f64 v[108:109], v[64:65], s[46:47]
	v_add_f64 v[6:7], v[110:111], v[6:7]
	v_mul_f64 v[110:111], v[72:73], s[10:11]
	s_delay_alu instid0(VALU_DEP_4) | instskip(NEXT) | instid1(VALU_DEP_2)
	v_add_f64 v[10:11], v[16:17], v[10:11]
	v_fma_f64 v[118:119], v[156:157], s[2:3], v[110:111]
	v_fma_f64 v[16:17], v[156:157], s[2:3], -v[110:111]
	v_fma_f64 v[110:111], v[44:45], s[20:21], v[108:109]
	v_fma_f64 v[108:109], v[44:45], s[20:21], -v[108:109]
	s_delay_alu instid0(VALU_DEP_4) | instskip(SKIP_2) | instid1(VALU_DEP_2)
	v_add_f64 v[4:5], v[118:119], v[4:5]
	v_mul_f64 v[118:119], v[66:67], s[10:11]
	v_add_f64 v[8:9], v[16:17], v[8:9]
	v_fma_f64 v[136:137], v[152:153], s[2:3], -v[118:119]
	v_fma_f64 v[16:17], v[152:153], s[2:3], v[118:119]
	s_delay_alu instid0(VALU_DEP_2) | instskip(SKIP_1) | instid1(VALU_DEP_3)
	v_add_f64 v[6:7], v[136:137], v[6:7]
	v_mul_f64 v[136:137], v[22:23], s[42:43]
	v_add_f64 v[10:11], v[16:17], v[10:11]
	s_delay_alu instid0(VALU_DEP_2) | instskip(SKIP_1) | instid1(VALU_DEP_2)
	v_fma_f64 v[138:139], v[54:55], s[30:31], v[136:137]
	v_fma_f64 v[16:17], v[54:55], s[30:31], -v[136:137]
	v_add_f64 v[4:5], v[138:139], v[4:5]
	v_mul_f64 v[138:139], v[38:39], s[42:43]
	s_delay_alu instid0(VALU_DEP_3) | instskip(NEXT) | instid1(VALU_DEP_2)
	v_add_f64 v[8:9], v[16:17], v[8:9]
	v_fma_f64 v[195:196], v[169:170], s[30:31], -v[138:139]
	v_fma_f64 v[16:17], v[169:170], s[30:31], v[138:139]
	s_delay_alu instid0(VALU_DEP_2) | instskip(SKIP_1) | instid1(VALU_DEP_3)
	v_add_f64 v[6:7], v[195:196], v[6:7]
	v_mul_f64 v[195:196], v[34:35], s[54:55]
	v_add_f64 v[10:11], v[16:17], v[10:11]
	s_delay_alu instid0(VALU_DEP_2) | instskip(SKIP_1) | instid1(VALU_DEP_2)
	v_fma_f64 v[209:210], v[68:69], s[8:9], v[195:196]
	v_fma_f64 v[16:17], v[68:69], s[8:9], -v[195:196]
	v_add_f64 v[4:5], v[209:210], v[4:5]
	v_mul_f64 v[209:210], v[32:33], s[54:55]
	s_delay_alu instid0(VALU_DEP_3) | instskip(NEXT) | instid1(VALU_DEP_2)
	v_add_f64 v[8:9], v[16:17], v[8:9]
	v_fma_f64 v[211:212], v[175:176], s[8:9], -v[209:210]
	v_fma_f64 v[16:17], v[175:176], s[8:9], v[209:210]
	s_delay_alu instid0(VALU_DEP_2) | instskip(SKIP_1) | instid1(VALU_DEP_3)
	v_add_f64 v[211:212], v[211:212], v[6:7]
	v_fma_f64 v[6:7], v[70:71], s[20:21], v[215:216]
	v_add_f64 v[16:17], v[16:17], v[10:11]
	v_fma_f64 v[10:11], v[70:71], s[20:21], -v[215:216]
	v_mul_f64 v[215:216], v[30:31], s[54:55]
	s_delay_alu instid0(VALU_DEP_4) | instskip(SKIP_3) | instid1(VALU_DEP_3)
	v_add_f64 v[2:3], v[6:7], v[4:5]
	v_fma_f64 v[4:5], v[179:180], s[20:21], -v[217:218]
	v_mul_f64 v[217:218], v[24:25], s[54:55]
	v_mul_f64 v[6:7], v[56:57], s[46:47]
	v_add_f64 v[0:1], v[4:5], v[211:212]
	v_dual_mov_b32 v4, v46 :: v_dual_mov_b32 v5, v47
	scratch_store_b128 off, v[0:3], off offset:224 ; 16-byte Folded Spill
	v_add_f64 v[0:1], v[18:19], v[16:17]
	v_fma_f64 v[16:17], v[42:43], s[30:31], v[104:105]
	v_fma_f64 v[18:19], v[48:49], s[30:31], -v[106:107]
	v_fma_f64 v[104:105], v[42:43], s[30:31], -v[104:105]
	v_fma_f64 v[106:107], v[48:49], s[30:31], v[106:107]
	v_add_f64 v[2:3], v[10:11], v[8:9]
	v_mul_f64 v[10:11], v[30:31], s[38:39]
	v_mul_f64 v[8:9], v[24:25], s[38:39]
	v_add_f64 v[16:17], v[16:17], v[112:113]
	v_add_f64 v[18:19], v[18:19], v[140:141]
	;; [unrolled: 1-line block ×4, first 2 shown]
	scratch_store_b128 off, v[0:3], off offset:256 ; 16-byte Folded Spill
	v_mul_f64 v[237:238], v[62:63], s[46:47]
	v_mul_f64 v[126:127], v[40:41], s[36:37]
	v_add_f64 v[16:17], v[110:111], v[16:17]
	v_mul_f64 v[110:111], v[58:59], s[46:47]
	v_add_f64 v[104:105], v[108:109], v[104:105]
	s_delay_alu instid0(VALU_DEP_4) | instskip(SKIP_1) | instid1(VALU_DEP_4)
	v_add_f64 v[126:127], v[183:184], -v[126:127]
	v_mul_f64 v[183:184], v[62:63], s[22:23]
	v_fma_f64 v[112:113], v[52:53], s[20:21], -v[110:111]
	v_fma_f64 v[108:109], v[52:53], s[20:21], v[110:111]
	v_fma_f64 v[110:111], v[179:180], s[8:9], v[217:218]
	s_delay_alu instid0(VALU_DEP_3) | instskip(SKIP_1) | instid1(VALU_DEP_4)
	v_add_f64 v[18:19], v[112:113], v[18:19]
	v_mul_f64 v[112:113], v[40:41], s[52:53]
	v_add_f64 v[106:107], v[108:109], v[106:107]
	s_delay_alu instid0(VALU_DEP_2) | instskip(SKIP_1) | instid1(VALU_DEP_2)
	v_fma_f64 v[118:119], v[46:47], s[2:3], v[112:113]
	v_fma_f64 v[108:109], v[46:47], s[2:3], -v[112:113]
	v_add_f64 v[16:17], v[118:119], v[16:17]
	v_mul_f64 v[118:119], v[62:63], s[52:53]
	s_delay_alu instid0(VALU_DEP_3) | instskip(NEXT) | instid1(VALU_DEP_2)
	v_add_f64 v[104:105], v[108:109], v[104:105]
	v_fma_f64 v[124:125], v[74:75], s[2:3], -v[118:119]
	v_fma_f64 v[108:109], v[74:75], s[2:3], v[118:119]
	v_mul_f64 v[118:119], v[64:65], s[28:29]
	s_delay_alu instid0(VALU_DEP_3) | instskip(SKIP_1) | instid1(VALU_DEP_4)
	v_add_f64 v[18:19], v[124:125], v[18:19]
	v_mul_f64 v[124:125], v[72:73], s[28:29]
	v_add_f64 v[106:107], v[108:109], v[106:107]
	s_delay_alu instid0(VALU_DEP_4) | instskip(SKIP_1) | instid1(VALU_DEP_4)
	v_add_f64 v[118:119], v[154:155], -v[118:119]
	v_mul_f64 v[154:155], v[66:67], s[44:45]
	v_fma_f64 v[136:137], v[156:157], s[16:17], v[124:125]
	v_fma_f64 v[108:109], v[156:157], s[16:17], -v[124:125]
	v_mul_f64 v[124:125], v[52:53], s[16:17]
	s_delay_alu instid0(VALU_DEP_3) | instskip(SKIP_1) | instid1(VALU_DEP_4)
	v_add_f64 v[16:17], v[136:137], v[16:17]
	v_mul_f64 v[136:137], v[66:67], s[28:29]
	v_add_f64 v[104:105], v[108:109], v[104:105]
	s_delay_alu instid0(VALU_DEP_4) | instskip(SKIP_1) | instid1(VALU_DEP_4)
	v_add_f64 v[124:125], v[124:125], v[28:29]
	v_mul_f64 v[28:29], v[34:35], s[52:53]
	v_fma_f64 v[138:139], v[152:153], s[16:17], -v[136:137]
	v_fma_f64 v[108:109], v[152:153], s[16:17], v[136:137]
	v_mul_f64 v[136:137], v[74:75], s[18:19]
	s_delay_alu instid0(VALU_DEP_3) | instskip(SKIP_1) | instid1(VALU_DEP_4)
	v_add_f64 v[18:19], v[138:139], v[18:19]
	v_mul_f64 v[138:139], v[22:23], s[38:39]
	v_add_f64 v[106:107], v[108:109], v[106:107]
	s_delay_alu instid0(VALU_DEP_4) | instskip(SKIP_1) | instid1(VALU_DEP_4)
	v_add_f64 v[136:137], v[136:137], v[160:161]
	v_dual_mov_b32 v161, v71 :: v_dual_mov_b32 v160, v70
	v_fma_f64 v[140:141], v[54:55], s[26:27], v[138:139]
	v_fma_f64 v[108:109], v[54:55], s[26:27], -v[138:139]
	v_mul_f64 v[138:139], v[72:73], s[34:35]
	s_delay_alu instid0(VALU_DEP_3) | instskip(SKIP_1) | instid1(VALU_DEP_4)
	v_add_f64 v[16:17], v[140:141], v[16:17]
	v_mul_f64 v[140:141], v[38:39], s[38:39]
	v_add_f64 v[104:105], v[108:109], v[104:105]
	s_delay_alu instid0(VALU_DEP_4) | instskip(SKIP_1) | instid1(VALU_DEP_4)
	v_add_f64 v[138:139], v[187:188], -v[138:139]
	v_mul_f64 v[187:188], v[72:73], s[48:49]
	v_fma_f64 v[195:196], v[169:170], s[26:27], -v[140:141]
	v_fma_f64 v[108:109], v[169:170], s[26:27], v[140:141]
	v_mul_f64 v[140:141], v[152:153], s[20:21]
	s_delay_alu instid0(VALU_DEP_3) | instskip(SKIP_1) | instid1(VALU_DEP_4)
	v_add_f64 v[18:19], v[195:196], v[18:19]
	v_mul_f64 v[195:196], v[34:35], s[48:49]
	v_add_f64 v[106:107], v[108:109], v[106:107]
	s_delay_alu instid0(VALU_DEP_4) | instskip(SKIP_1) | instid1(VALU_DEP_4)
	v_add_f64 v[140:141], v[140:141], v[164:165]
	v_dual_mov_b32 v165, v75 :: v_dual_mov_b32 v164, v74
	v_fma_f64 v[209:210], v[68:69], s[24:25], v[195:196]
	v_fma_f64 v[108:109], v[68:69], s[24:25], -v[195:196]
	v_mul_f64 v[195:196], v[66:67], s[54:55]
	s_delay_alu instid0(VALU_DEP_3) | instskip(SKIP_1) | instid1(VALU_DEP_4)
	v_add_f64 v[16:17], v[209:210], v[16:17]
	v_mul_f64 v[209:210], v[32:33], s[48:49]
	v_add_f64 v[104:105], v[108:109], v[104:105]
	s_delay_alu instid0(VALU_DEP_2) | instskip(SKIP_4) | instid1(SALU_CYCLE_1)
	v_fma_f64 v[211:212], v[175:176], s[24:25], -v[209:210]
	v_fma_f64 v[108:109], v[175:176], s[24:25], v[209:210]
	v_mul_f64 v[209:210], v[72:73], s[54:55]
	s_mov_b32 s55, 0x3fe0d888
	s_mov_b32 s54, s36
	v_mul_f64 v[219:220], v[72:73], s[54:55]
	s_delay_alu instid0(VALU_DEP_4) | instskip(SKIP_4) | instid1(VALU_DEP_4)
	v_add_f64 v[211:212], v[211:212], v[18:19]
	v_fma_f64 v[18:19], v[70:71], s[8:9], v[215:216]
	v_add_f64 v[108:109], v[108:109], v[106:107]
	v_fma_f64 v[106:107], v[70:71], s[8:9], -v[215:216]
	v_mul_f64 v[215:216], v[58:59], s[44:45]
	v_add_f64 v[2:3], v[18:19], v[16:17]
	v_fma_f64 v[16:17], v[179:180], s[8:9], -v[217:218]
	s_delay_alu instid0(VALU_DEP_4)
	v_add_f64 v[106:107], v[106:107], v[104:105]
	v_add_f64 v[104:105], v[110:111], v[108:109]
	v_fma_f64 v[108:109], v[42:43], s[24:25], -v[252:253]
	v_fma_f64 v[110:111], v[48:49], s[24:25], v[243:244]
	v_mul_f64 v[217:218], v[40:41], s[46:47]
	v_mul_f64 v[18:19], v[32:33], s[36:37]
	v_add_f64 v[0:1], v[16:17], v[211:212]
	v_mul_f64 v[211:212], v[64:65], s[44:45]
	v_mul_f64 v[16:17], v[34:35], s[36:37]
	v_add_f64 v[108:109], v[108:109], v[116:117]
	v_add_f64 v[110:111], v[110:111], v[144:145]
	v_mul_f64 v[144:145], v[60:61], s[46:47]
	v_mul_f64 v[116:117], v[48:49], s[8:9]
	scratch_store_b128 off, v[0:3], off offset:288 ; 16-byte Folded Spill
	v_fma_f64 v[112:113], v[44:45], s[30:31], -v[211:212]
	v_mul_f64 v[0:1], v[30:31], s[36:37]
	v_add_f64 v[116:117], v[116:117], v[20:21]
	v_mul_f64 v[20:21], v[72:73], s[44:45]
	s_delay_alu instid0(VALU_DEP_4)
	v_add_f64 v[108:109], v[112:113], v[108:109]
	v_fma_f64 v[112:113], v[52:53], s[30:31], v[215:216]
	v_fma_f64 v[2:3], v[70:71], s[18:19], -v[0:1]
	v_fma_f64 v[0:1], v[160:161], s[18:19], v[0:1]
	v_add_f64 v[116:117], v[116:117], v[241:242]
	v_mul_f64 v[241:242], v[40:41], s[22:23]
	v_add_f64 v[110:111], v[112:113], v[110:111]
	v_fma_f64 v[112:113], v[46:47], s[20:21], -v[217:218]
	s_delay_alu instid0(VALU_DEP_4) | instskip(SKIP_1) | instid1(VALU_DEP_3)
	v_add_f64 v[116:117], v[124:125], v[116:117]
	v_mul_f64 v[124:125], v[175:176], s[26:27]
	v_add_f64 v[108:109], v[112:113], v[108:109]
	v_fma_f64 v[112:113], v[74:75], s[20:21], v[237:238]
	s_delay_alu instid0(VALU_DEP_4) | instskip(NEXT) | instid1(VALU_DEP_4)
	v_add_f64 v[116:117], v[136:137], v[116:117]
	v_add_f64 v[124:125], v[124:125], v[189:190]
	v_mul_f64 v[136:137], v[179:180], s[30:31]
	v_mul_f64 v[189:190], v[64:65], s[22:23]
	v_add_f64 v[110:111], v[112:113], v[110:111]
	v_fma_f64 v[112:113], v[156:157], s[8:9], -v[209:210]
	v_add_f64 v[116:117], v[140:141], v[116:117]
	v_mul_f64 v[140:141], v[56:57], s[10:11]
	v_add_f64 v[136:137], v[136:137], v[193:194]
	v_mul_f64 v[193:194], v[58:59], s[22:23]
	v_add_f64 v[108:109], v[112:113], v[108:109]
	v_fma_f64 v[112:113], v[152:153], s[8:9], v[195:196]
	s_delay_alu instid0(VALU_DEP_1) | instskip(SKIP_1) | instid1(VALU_DEP_1)
	v_add_f64 v[110:111], v[112:113], v[110:111]
	v_fma_f64 v[112:113], v[54:55], s[2:3], -v[150:151]
	v_add_f64 v[108:109], v[112:113], v[108:109]
	v_fma_f64 v[112:113], v[169:170], s[2:3], v[148:149]
	s_delay_alu instid0(VALU_DEP_1) | instskip(SKIP_3) | instid1(VALU_DEP_2)
	v_add_f64 v[110:111], v[112:113], v[110:111]
	v_fma_f64 v[112:113], v[68:69], s[18:19], -v[16:17]
	v_dual_mov_b32 v69, v39 :: v_dual_mov_b32 v68, v38
	v_fma_f64 v[38:39], v[44:45], s[2:3], -v[36:37]
	v_mul_f64 v[213:214], v[68:69], s[36:37]
	s_delay_alu instid0(VALU_DEP_4) | instskip(SKIP_1) | instid1(VALU_DEP_1)
	v_add_f64 v[108:109], v[112:113], v[108:109]
	v_fma_f64 v[112:113], v[175:176], s[18:19], v[18:19]
	v_add_f64 v[112:113], v[112:113], v[110:111]
	v_fma_f64 v[110:111], v[70:71], s[26:27], -v[10:11]
	s_delay_alu instid0(VALU_DEP_1) | instskip(SKIP_1) | instid1(VALU_DEP_1)
	v_add_f64 v[110:111], v[110:111], v[108:109]
	v_fma_f64 v[108:109], v[179:180], s[26:27], v[8:9]
	v_add_f64 v[108:109], v[108:109], v[112:113]
	v_fma_f64 v[112:113], v[42:43], s[20:21], -v[144:145]
	v_fma_f64 v[42:43], v[156:157], s[18:19], -v[219:220]
	s_delay_alu instid0(VALU_DEP_2) | instskip(SKIP_1) | instid1(VALU_DEP_2)
	v_add_f64 v[112:113], v[112:113], v[114:115]
	v_fma_f64 v[114:115], v[48:49], s[20:21], v[6:7]
	v_add_f64 v[38:39], v[38:39], v[112:113]
	s_delay_alu instid0(VALU_DEP_2)
	v_add_f64 v[114:115], v[114:115], v[142:143]
	v_fma_f64 v[112:113], v[52:53], s[2:3], v[171:172]
	v_mul_f64 v[142:143], v[22:23], s[40:41]
	s_mov_b32 s41, 0x3fc7851a
	s_mov_b32 s40, s38
	v_fma_f64 v[22:23], v[156:157], s[30:31], -v[20:21]
	v_fma_f64 v[20:21], v[156:157], s[30:31], v[20:21]
	s_delay_alu instid0(VALU_DEP_4)
	v_add_f64 v[112:113], v[112:113], v[114:115]
	v_fma_f64 v[114:115], v[46:47], s[26:27], -v[254:255]
	v_fma_f64 v[46:47], v[54:55], s[8:9], -v[162:163]
	;; [unrolled: 1-line block ×3, first 2 shown]
	v_add_f64 v[142:143], v[191:192], -v[142:143]
	v_mul_f64 v[191:192], v[66:67], s[48:49]
	v_dual_mov_b32 v71, v35 :: v_dual_mov_b32 v70, v34
	v_add_f64 v[38:39], v[114:115], v[38:39]
	v_fma_f64 v[114:115], v[74:75], s[26:27], v[247:248]
	s_delay_alu instid0(VALU_DEP_2) | instskip(SKIP_1) | instid1(VALU_DEP_3)
	v_add_f64 v[38:39], v[42:43], v[38:39]
	v_mul_f64 v[42:43], v[66:67], s[54:55]
	v_add_f64 v[112:113], v[114:115], v[112:113]
	s_delay_alu instid0(VALU_DEP_3) | instskip(NEXT) | instid1(VALU_DEP_3)
	v_add_f64 v[38:39], v[46:47], v[38:39]
	v_fma_f64 v[114:115], v[152:153], s[18:19], v[42:43]
	v_mul_f64 v[46:47], v[68:69], s[22:23]
	s_delay_alu instid0(VALU_DEP_3) | instskip(NEXT) | instid1(VALU_DEP_3)
	v_add_f64 v[38:39], v[50:51], v[38:39]
	v_add_f64 v[112:113], v[114:115], v[112:113]
	s_delay_alu instid0(VALU_DEP_3) | instskip(SKIP_1) | instid1(VALU_DEP_2)
	v_fma_f64 v[114:115], v[169:170], s[8:9], v[46:47]
	v_mul_f64 v[50:51], v[32:33], s[42:43]
	v_add_f64 v[112:113], v[114:115], v[112:113]
	s_delay_alu instid0(VALU_DEP_2) | instskip(NEXT) | instid1(VALU_DEP_1)
	v_fma_f64 v[114:115], v[175:176], s[30:31], v[50:51]
	v_add_f64 v[112:113], v[114:115], v[112:113]
	v_add_f64 v[114:115], v[54:55], v[38:39]
	v_mul_f64 v[38:39], v[24:25], s[50:51]
	s_delay_alu instid0(VALU_DEP_1) | instskip(NEXT) | instid1(VALU_DEP_1)
	v_fma_f64 v[54:55], v[179:180], s[16:17], v[38:39]
	v_add_f64 v[112:113], v[54:55], v[112:113]
	v_mul_f64 v[54:55], v[60:61], s[22:23]
	s_delay_alu instid0(VALU_DEP_1) | instskip(SKIP_1) | instid1(VALU_DEP_2)
	v_add_f64 v[54:55], v[26:27], -v[54:55]
	v_fma_f64 v[26:27], v[152:153], s[30:31], v[154:155]
	v_add_f64 v[54:55], v[54:55], v[239:240]
	v_mul_f64 v[239:240], v[169:170], s[24:25]
	s_delay_alu instid0(VALU_DEP_2) | instskip(SKIP_1) | instid1(VALU_DEP_3)
	v_add_f64 v[54:55], v[118:119], v[54:55]
	v_mul_f64 v[118:119], v[34:35], s[38:39]
	v_add_f64 v[239:240], v[239:240], v[185:186]
	v_mul_f64 v[185:186], v[32:33], s[46:47]
	s_delay_alu instid0(VALU_DEP_4) | instskip(NEXT) | instid1(VALU_DEP_4)
	v_add_f64 v[54:55], v[126:127], v[54:55]
	v_add_f64 v[118:119], v[200:201], -v[118:119]
	v_mul_f64 v[126:127], v[30:31], s[42:43]
	v_add_f64 v[116:117], v[239:240], v[116:117]
	v_mul_f64 v[239:240], v[58:59], s[40:41]
	v_mul_f64 v[201:202], v[68:69], s[28:29]
	;; [unrolled: 1-line block ×3, first 2 shown]
	v_add_f64 v[54:55], v[138:139], v[54:55]
	v_mul_f64 v[138:139], v[56:57], s[38:39]
	v_add_f64 v[126:127], v[100:101], -v[126:127]
	v_add_f64 v[116:117], v[124:125], v[116:117]
	v_mul_f64 v[100:101], v[58:59], s[48:49]
	v_add_f64 v[54:55], v[142:143], v[54:55]
	v_mul_f64 v[142:143], v[64:65], s[40:41]
	s_delay_alu instid0(VALU_DEP_4) | instskip(SKIP_3) | instid1(VALU_DEP_1)
	v_add_f64 v[116:117], v[136:137], v[116:117]
	v_mul_f64 v[136:137], v[60:61], s[38:39]
	v_fma_f64 v[102:103], v[52:53], s[24:25], v[100:101]
	v_add_f64 v[54:55], v[118:119], v[54:55]
	v_add_f64 v[118:119], v[126:127], v[54:55]
	v_mul_f64 v[54:55], v[60:61], s[10:11]
	v_fma_f64 v[126:127], v[48:49], s[26:27], v[138:139]
	s_delay_alu instid0(VALU_DEP_2) | instskip(NEXT) | instid1(VALU_DEP_2)
	v_fma_f64 v[124:125], v[158:159], s[2:3], -v[54:55]
	v_add_f64 v[126:127], v[126:127], v[134:135]
	v_mul_f64 v[134:135], v[64:65], s[48:49]
	v_mul_f64 v[64:65], v[245:246], s[34:35]
	s_delay_alu instid0(VALU_DEP_4) | instskip(SKIP_1) | instid1(VALU_DEP_1)
	v_add_f64 v[120:121], v[124:125], v[120:121]
	v_fma_f64 v[124:125], v[48:49], s[2:3], v[140:141]
	v_add_f64 v[122:123], v[124:125], v[122:123]
	v_fma_f64 v[124:125], v[44:45], s[26:27], -v[142:143]
	s_delay_alu instid0(VALU_DEP_1) | instskip(SKIP_1) | instid1(VALU_DEP_1)
	v_add_f64 v[120:121], v[124:125], v[120:121]
	v_fma_f64 v[124:125], v[52:53], s[26:27], v[239:240]
	v_add_f64 v[122:123], v[124:125], v[122:123]
	v_fma_f64 v[124:125], v[4:5], s[8:9], -v[241:242]
	s_delay_alu instid0(VALU_DEP_1) | instskip(SKIP_1) | instid1(VALU_DEP_1)
	;; [unrolled: 5-line block ×5, first 2 shown]
	v_add_f64 v[120:121], v[124:125], v[120:121]
	v_fma_f64 v[124:125], v[175:176], s[20:21], v[185:186]
	v_add_f64 v[124:125], v[124:125], v[122:123]
	s_delay_alu instid0(VALU_DEP_3) | instskip(SKIP_1) | instid1(VALU_DEP_1)
	v_add_f64 v[122:123], v[2:3], v[120:121]
	v_mul_f64 v[2:3], v[24:25], s[36:37]
	v_fma_f64 v[120:121], v[179:180], s[18:19], v[2:3]
	v_fma_f64 v[2:3], v[179:180], s[18:19], -v[2:3]
	s_delay_alu instid0(VALU_DEP_2) | instskip(SKIP_1) | instid1(VALU_DEP_1)
	v_add_f64 v[120:121], v[120:121], v[124:125]
	v_fma_f64 v[124:125], v[158:159], s[26:27], -v[136:137]
	v_add_f64 v[124:125], v[124:125], v[132:133]
	v_fma_f64 v[132:133], v[44:45], s[8:9], -v[189:190]
	s_delay_alu instid0(VALU_DEP_1) | instskip(SKIP_1) | instid1(VALU_DEP_1)
	v_add_f64 v[124:125], v[132:133], v[124:125]
	v_fma_f64 v[132:133], v[52:53], s[8:9], v[193:194]
	v_add_f64 v[126:127], v[132:133], v[126:127]
	v_fma_f64 v[132:133], v[4:5], s[16:17], -v[199:200]
	s_delay_alu instid0(VALU_DEP_1) | instskip(SKIP_3) | instid1(VALU_DEP_2)
	v_add_f64 v[124:125], v[132:133], v[124:125]
	v_fma_f64 v[132:133], v[74:75], s[16:17], v[203:204]
	v_dual_mov_b32 v75, v31 :: v_dual_mov_b32 v74, v30
	v_fma_f64 v[30:31], v[181:182], s[2:3], -v[28:29]
	v_mul_f64 v[221:222], v[74:75], s[48:49]
	v_add_f64 v[22:23], v[22:23], v[124:125]
	v_fma_f64 v[124:125], v[177:178], s[18:19], -v[207:208]
	v_add_f64 v[126:127], v[132:133], v[126:127]
	v_mul_f64 v[132:133], v[56:57], s[54:55]
	v_mul_f64 v[56:57], v[40:41], s[44:45]
	v_fma_f64 v[34:35], v[160:161], s[24:25], -v[221:222]
	v_add_f64 v[22:23], v[124:125], v[22:23]
	v_add_f64 v[26:27], v[26:27], v[126:127]
	v_fma_f64 v[124:125], v[169:170], s[18:19], v[213:214]
	v_fma_f64 v[58:59], v[4:5], s[30:31], -v[56:57]
	s_delay_alu instid0(VALU_DEP_4) | instskip(SKIP_1) | instid1(VALU_DEP_4)
	v_add_f64 v[22:23], v[30:31], v[22:23]
	v_mul_f64 v[30:31], v[32:33], s[52:53]
	v_add_f64 v[26:27], v[124:125], v[26:27]
	s_delay_alu instid0(VALU_DEP_3) | instskip(NEXT) | instid1(VALU_DEP_3)
	v_add_f64 v[126:127], v[34:35], v[22:23]
	v_fma_f64 v[124:125], v[175:176], s[2:3], v[30:31]
	v_mul_f64 v[22:23], v[24:25], s[48:49]
	s_delay_alu instid0(VALU_DEP_2) | instskip(NEXT) | instid1(VALU_DEP_2)
	v_add_f64 v[26:27], v[124:125], v[26:27]
	v_fma_f64 v[34:35], v[179:180], s[24:25], v[22:23]
	v_fma_f64 v[22:23], v[179:180], s[24:25], -v[22:23]
	s_delay_alu instid0(VALU_DEP_2)
	v_add_f64 v[124:125], v[34:35], v[26:27]
	v_mul_f64 v[26:27], v[60:61], s[54:55]
	v_mul_f64 v[60:61], v[72:73], s[38:39]
	;; [unrolled: 1-line block ×4, first 2 shown]
	v_fma_f64 v[24:25], v[177:178], s[18:19], v[207:208]
	v_fma_f64 v[34:35], v[158:159], s[18:19], -v[26:27]
	v_fma_f64 v[26:27], v[158:159], s[18:19], v[26:27]
	s_delay_alu instid0(VALU_DEP_2) | instskip(SKIP_1) | instid1(VALU_DEP_3)
	v_add_f64 v[34:35], v[34:35], v[128:129]
	v_fma_f64 v[128:129], v[48:49], s[18:19], v[132:133]
	v_add_f64 v[12:13], v[26:27], v[12:13]
	v_fma_f64 v[26:27], v[48:49], s[18:19], -v[132:133]
	s_delay_alu instid0(VALU_DEP_3) | instskip(SKIP_1) | instid1(VALU_DEP_3)
	v_add_f64 v[128:129], v[128:129], v[130:131]
	v_fma_f64 v[130:131], v[44:45], s[24:25], -v[134:135]
	v_add_f64 v[26:27], v[26:27], v[146:147]
	s_delay_alu instid0(VALU_DEP_3) | instskip(NEXT) | instid1(VALU_DEP_3)
	v_add_f64 v[102:103], v[102:103], v[128:129]
	v_add_f64 v[34:35], v[130:131], v[34:35]
	s_delay_alu instid0(VALU_DEP_1) | instskip(SKIP_2) | instid1(VALU_DEP_2)
	v_add_f64 v[34:35], v[58:59], v[34:35]
	v_mul_f64 v[58:59], v[62:63], s[44:45]
	v_fma_f64 v[62:63], v[156:157], s[26:27], -v[60:61]
	v_fma_f64 v[128:129], v[164:165], s[30:31], v[58:59]
	s_delay_alu instid0(VALU_DEP_2) | instskip(SKIP_2) | instid1(VALU_DEP_4)
	v_add_f64 v[34:35], v[62:63], v[34:35]
	v_mul_f64 v[62:63], v[66:67], s[38:39]
	v_fma_f64 v[66:67], v[177:178], s[20:21], -v[64:65]
	v_add_f64 v[102:103], v[128:129], v[102:103]
	s_delay_alu instid0(VALU_DEP_3) | instskip(NEXT) | instid1(VALU_DEP_3)
	v_fma_f64 v[128:129], v[152:153], s[26:27], v[62:63]
	v_add_f64 v[34:35], v[66:67], v[34:35]
	v_mul_f64 v[66:67], v[68:69], s[34:35]
	v_mul_f64 v[68:69], v[70:71], s[28:29]
	s_delay_alu instid0(VALU_DEP_4) | instskip(NEXT) | instid1(VALU_DEP_3)
	v_add_f64 v[102:103], v[128:129], v[102:103]
	v_fma_f64 v[128:129], v[169:170], s[20:21], v[66:67]
	s_delay_alu instid0(VALU_DEP_3) | instskip(NEXT) | instid1(VALU_DEP_2)
	v_fma_f64 v[70:71], v[181:182], s[16:17], -v[68:69]
	v_add_f64 v[102:103], v[128:129], v[102:103]
	s_delay_alu instid0(VALU_DEP_2) | instskip(SKIP_1) | instid1(VALU_DEP_1)
	v_add_f64 v[34:35], v[70:71], v[34:35]
	v_mul_f64 v[70:71], v[32:33], s[28:29]
	v_fma_f64 v[128:129], v[175:176], s[16:17], v[70:71]
	s_delay_alu instid0(VALU_DEP_1) | instskip(SKIP_1) | instid1(VALU_DEP_1)
	v_add_f64 v[102:103], v[128:129], v[102:103]
	v_fma_f64 v[128:129], v[160:161], s[2:3], -v[72:73]
	v_add_f64 v[130:131], v[128:129], v[34:35]
	v_fma_f64 v[34:35], v[179:180], s[2:3], v[74:75]
	s_delay_alu instid0(VALU_DEP_1) | instskip(SKIP_1) | instid1(VALU_DEP_1)
	v_add_f64 v[128:129], v[34:35], v[102:103]
	v_fma_f64 v[34:35], v[44:45], s[24:25], v[134:135]
	v_add_f64 v[12:13], v[34:35], v[12:13]
	v_fma_f64 v[34:35], v[52:53], s[24:25], -v[100:101]
	s_delay_alu instid0(VALU_DEP_1) | instskip(SKIP_2) | instid1(VALU_DEP_2)
	v_add_f64 v[26:27], v[34:35], v[26:27]
	v_fma_f64 v[34:35], v[4:5], s[30:31], v[56:57]
	v_fma_f64 v[56:57], v[179:180], s[2:3], -v[74:75]
	v_add_f64 v[12:13], v[34:35], v[12:13]
	v_fma_f64 v[34:35], v[164:165], s[30:31], -v[58:59]
	s_delay_alu instid0(VALU_DEP_1) | instskip(SKIP_1) | instid1(VALU_DEP_1)
	v_add_f64 v[26:27], v[34:35], v[26:27]
	v_fma_f64 v[34:35], v[156:157], s[26:27], v[60:61]
	v_add_f64 v[12:13], v[34:35], v[12:13]
	v_fma_f64 v[34:35], v[152:153], s[26:27], -v[62:63]
	s_delay_alu instid0(VALU_DEP_1) | instskip(SKIP_1) | instid1(VALU_DEP_1)
	v_add_f64 v[26:27], v[34:35], v[26:27]
	v_fma_f64 v[34:35], v[177:178], s[20:21], v[64:65]
	;; [unrolled: 5-line block ×3, first 2 shown]
	v_add_f64 v[12:13], v[34:35], v[12:13]
	v_fma_f64 v[34:35], v[175:176], s[16:17], -v[70:71]
	s_delay_alu instid0(VALU_DEP_1) | instskip(SKIP_1) | instid1(VALU_DEP_2)
	v_add_f64 v[26:27], v[34:35], v[26:27]
	v_fma_f64 v[34:35], v[160:161], s[2:3], v[72:73]
	v_add_f64 v[132:133], v[56:57], v[26:27]
	s_delay_alu instid0(VALU_DEP_2) | instskip(SKIP_3) | instid1(VALU_DEP_3)
	v_add_f64 v[134:135], v[34:35], v[12:13]
	v_fma_f64 v[12:13], v[158:159], s[26:27], v[136:137]
	v_fma_f64 v[26:27], v[48:49], s[26:27], -v[138:139]
	v_fma_f64 v[34:35], v[44:45], s[8:9], v[189:190]
	v_add_f64 v[12:13], v[12:13], v[14:15]
	scratch_load_b64 v[14:15], off, off offset:320 ; 8-byte Folded Reload
	v_add_f64 v[12:13], v[34:35], v[12:13]
	v_fma_f64 v[34:35], v[52:53], s[8:9], -v[193:194]
	s_waitcnt vmcnt(0)
	v_add_f64 v[26:27], v[26:27], v[14:15]
	scratch_load_b64 v[14:15], off, off offset:312 ; 8-byte Folded Reload
	v_add_f64 v[26:27], v[34:35], v[26:27]
	v_fma_f64 v[34:35], v[4:5], s[16:17], v[199:200]
	s_delay_alu instid0(VALU_DEP_1) | instskip(SKIP_1) | instid1(VALU_DEP_2)
	v_add_f64 v[12:13], v[34:35], v[12:13]
	v_fma_f64 v[34:35], v[164:165], s[16:17], -v[203:204]
	v_add_f64 v[12:13], v[20:21], v[12:13]
	s_delay_alu instid0(VALU_DEP_2) | instskip(SKIP_1) | instid1(VALU_DEP_3)
	v_add_f64 v[26:27], v[34:35], v[26:27]
	v_fma_f64 v[20:21], v[152:153], s[30:31], -v[154:155]
	v_add_f64 v[12:13], v[24:25], v[12:13]
	v_fma_f64 v[24:25], v[169:170], s[18:19], -v[213:214]
	s_delay_alu instid0(VALU_DEP_3) | instskip(NEXT) | instid1(VALU_DEP_1)
	v_add_f64 v[20:21], v[20:21], v[26:27]
	v_add_f64 v[20:21], v[24:25], v[20:21]
	v_fma_f64 v[24:25], v[181:182], s[2:3], v[28:29]
	s_delay_alu instid0(VALU_DEP_1) | instskip(SKIP_1) | instid1(VALU_DEP_1)
	v_add_f64 v[12:13], v[24:25], v[12:13]
	v_fma_f64 v[24:25], v[175:176], s[2:3], -v[30:31]
	v_add_f64 v[20:21], v[24:25], v[20:21]
	v_fma_f64 v[24:25], v[160:161], s[24:25], v[221:222]
	s_delay_alu instid0(VALU_DEP_2) | instskip(NEXT) | instid1(VALU_DEP_2)
	v_add_f64 v[136:137], v[22:23], v[20:21]
	v_add_f64 v[138:139], v[24:25], v[12:13]
	v_fma_f64 v[12:13], v[158:159], s[2:3], v[54:55]
	v_fma_f64 v[20:21], v[48:49], s[2:3], -v[140:141]
	s_waitcnt vmcnt(0)
	s_delay_alu instid0(VALU_DEP_2) | instskip(SKIP_4) | instid1(VALU_DEP_1)
	v_add_f64 v[12:13], v[12:13], v[14:15]
	scratch_load_b64 v[14:15], off, off offset:304 ; 8-byte Folded Reload
	s_waitcnt vmcnt(0)
	v_add_f64 v[14:15], v[20:21], v[14:15]
	v_fma_f64 v[20:21], v[44:45], s[26:27], v[142:143]
	v_add_f64 v[12:13], v[20:21], v[12:13]
	v_fma_f64 v[20:21], v[52:53], s[26:27], -v[239:240]
	s_delay_alu instid0(VALU_DEP_1) | instskip(SKIP_1) | instid1(VALU_DEP_1)
	v_add_f64 v[14:15], v[20:21], v[14:15]
	v_fma_f64 v[20:21], v[4:5], s[8:9], v[241:242]
	v_add_f64 v[12:13], v[20:21], v[12:13]
	v_fma_f64 v[20:21], v[164:165], s[8:9], -v[183:184]
	s_delay_alu instid0(VALU_DEP_1) | instskip(SKIP_1) | instid1(VALU_DEP_1)
	;; [unrolled: 5-line block ×4, first 2 shown]
	v_add_f64 v[14:15], v[20:21], v[14:15]
	v_fma_f64 v[20:21], v[181:182], s[20:21], v[205:206]
	v_add_f64 v[12:13], v[20:21], v[12:13]
	v_fma_f64 v[20:21], v[175:176], s[20:21], -v[185:186]
	s_delay_alu instid0(VALU_DEP_2) | instskip(NEXT) | instid1(VALU_DEP_2)
	v_add_f64 v[142:143], v[0:1], v[12:13]
	v_add_f64 v[14:15], v[20:21], v[14:15]
	v_fma_f64 v[0:1], v[158:159], s[20:21], v[144:145]
	v_fma_f64 v[12:13], v[44:45], s[2:3], v[36:37]
	;; [unrolled: 1-line block ×3, first 2 shown]
	s_delay_alu instid0(VALU_DEP_4)
	v_add_f64 v[140:141], v[2:3], v[14:15]
	scratch_load_b64 v[2:3], off, off offset:280 ; 8-byte Folded Reload
	v_fma_f64 v[14:15], v[179:180], s[16:17], -v[38:39]
	s_waitcnt vmcnt(0)
	v_add_f64 v[0:1], v[0:1], v[2:3]
	v_fma_f64 v[2:3], v[48:49], s[20:21], -v[6:7]
	scratch_load_b64 v[6:7], off, off offset:272 ; 8-byte Folded Reload
	v_add_f64 v[0:1], v[12:13], v[0:1]
	v_fma_f64 v[12:13], v[52:53], s[2:3], -v[171:172]
	s_waitcnt vmcnt(0)
	v_add_f64 v[2:3], v[2:3], v[6:7]
	scratch_load_b64 v[6:7], off, off offset:248 ; 8-byte Folded Reload
	v_add_f64 v[2:3], v[12:13], v[2:3]
	v_fma_f64 v[12:13], v[4:5], s[26:27], v[254:255]
	v_mov_b32_e32 v255, v166
	s_delay_alu instid0(VALU_DEP_2) | instskip(SKIP_1) | instid1(VALU_DEP_1)
	v_add_f64 v[0:1], v[12:13], v[0:1]
	v_fma_f64 v[12:13], v[164:165], s[26:27], -v[247:248]
	v_add_f64 v[2:3], v[12:13], v[2:3]
	v_fma_f64 v[12:13], v[156:157], s[18:19], v[219:220]
	s_delay_alu instid0(VALU_DEP_1) | instskip(SKIP_1) | instid1(VALU_DEP_1)
	v_add_f64 v[0:1], v[12:13], v[0:1]
	v_fma_f64 v[12:13], v[152:153], s[18:19], -v[42:43]
	v_add_f64 v[2:3], v[12:13], v[2:3]
	v_fma_f64 v[12:13], v[177:178], s[8:9], v[162:163]
	s_delay_alu instid0(VALU_DEP_1) | instskip(SKIP_1) | instid1(VALU_DEP_1)
	;; [unrolled: 5-line block ×3, first 2 shown]
	v_add_f64 v[0:1], v[12:13], v[0:1]
	v_fma_f64 v[12:13], v[175:176], s[30:31], -v[50:51]
	v_add_f64 v[2:3], v[12:13], v[2:3]
	v_fma_f64 v[12:13], v[160:161], s[16:17], v[173:174]
	s_delay_alu instid0(VALU_DEP_2) | instskip(NEXT) | instid1(VALU_DEP_2)
	v_add_f64 v[144:145], v[14:15], v[2:3]
	v_add_f64 v[146:147], v[12:13], v[0:1]
	v_fma_f64 v[0:1], v[158:159], s[24:25], v[252:253]
	v_fma_f64 v[12:13], v[44:45], s[30:31], v[211:212]
	v_fma_f64 v[2:3], v[48:49], s[24:25], -v[243:244]
	v_fma_f64 v[14:15], v[52:53], s[30:31], -v[215:216]
	s_waitcnt vmcnt(0)
	s_delay_alu instid0(VALU_DEP_4) | instskip(SKIP_3) | instid1(VALU_DEP_2)
	v_add_f64 v[0:1], v[0:1], v[6:7]
	scratch_load_b64 v[6:7], off, off offset:240 ; 8-byte Folded Reload
	v_add_f64 v[0:1], v[12:13], v[0:1]
	v_fma_f64 v[12:13], v[164:165], s[20:21], -v[237:238]
	v_add_f64 v[0:1], v[20:21], v[0:1]
	v_fma_f64 v[20:21], v[152:153], s[8:9], -v[195:196]
	scratch_load_b128 v[196:199], off, off offset:192 ; 16-byte Folded Reload
	s_waitcnt vmcnt(1)
	v_add_f64 v[2:3], v[2:3], v[6:7]
	s_delay_alu instid0(VALU_DEP_1) | instskip(SKIP_1) | instid1(VALU_DEP_2)
	v_add_f64 v[2:3], v[14:15], v[2:3]
	v_fma_f64 v[14:15], v[156:157], s[8:9], v[209:210]
	v_add_f64 v[2:3], v[12:13], v[2:3]
	v_fma_f64 v[12:13], v[177:178], s[2:3], v[150:151]
	s_delay_alu instid0(VALU_DEP_3) | instskip(SKIP_1) | instid1(VALU_DEP_4)
	v_add_f64 v[0:1], v[14:15], v[0:1]
	v_fma_f64 v[14:15], v[169:170], s[2:3], -v[148:149]
	v_add_f64 v[2:3], v[20:21], v[2:3]
	v_fma_f64 v[20:21], v[181:182], s[18:19], v[16:17]
	s_delay_alu instid0(VALU_DEP_4) | instskip(SKIP_1) | instid1(VALU_DEP_4)
	v_add_f64 v[0:1], v[12:13], v[0:1]
	v_fma_f64 v[12:13], v[175:176], s[18:19], -v[18:19]
	v_add_f64 v[2:3], v[14:15], v[2:3]
	v_fma_f64 v[14:15], v[160:161], s[26:27], v[10:11]
	s_delay_alu instid0(VALU_DEP_4) | instskip(SKIP_1) | instid1(VALU_DEP_4)
	v_add_f64 v[0:1], v[20:21], v[0:1]
	v_fma_f64 v[20:21], v[179:180], s[26:27], -v[8:9]
	v_add_f64 v[2:3], v[12:13], v[2:3]
	s_delay_alu instid0(VALU_DEP_3)
	v_add_f64 v[14:15], v[14:15], v[0:1]
	s_clause 0x1
	scratch_load_b32 v1, off, off offset:12
	scratch_load_b32 v0, off, off
	v_add_f64 v[12:13], v[20:21], v[2:3]
	s_waitcnt vmcnt(0)
	v_mul_lo_u16 v0, v0, 17
	s_delay_alu instid0(VALU_DEP_1) | instskip(NEXT) | instid1(VALU_DEP_1)
	v_and_b32_e32 v0, 0xffff, v0
	v_lshl_add_u32 v0, v0, 4, v1
	scratch_load_b128 v[1:4], off, off offset:208 ; 16-byte Folded Reload
	s_waitcnt vmcnt(0)
	ds_store_b128 v0, v[1:4]
	ds_store_b128 v0, v[108:111] offset:16
	ds_store_b128 v0, v[112:115] offset:32
	;; [unrolled: 1-line block ×7, first 2 shown]
	scratch_load_b128 v[1:4], off, off offset:256 ; 16-byte Folded Reload
	s_waitcnt vmcnt(0)
	ds_store_b128 v0, v[1:4] offset:128
	scratch_load_b128 v[1:4], off, off offset:224 ; 16-byte Folded Reload
	s_waitcnt vmcnt(0)
	ds_store_b128 v0, v[1:4] offset:144
	;; [unrolled: 3-line block ×3, first 2 shown]
	ds_store_b128 v0, v[196:199] offset:176
	ds_store_b128 v0, v[132:135] offset:192
	;; [unrolled: 1-line block ×6, first 2 shown]
.LBB0_17:
	s_or_b32 exec_lo, exec_lo, s1
	s_waitcnt lgkmcnt(0)
	s_waitcnt_vscnt null, 0x0
	s_barrier
	buffer_gl0_inv
	scratch_load_b128 v[22:25], off, off offset:32 ; 16-byte Folded Reload
	ds_load_b128 v[0:3], v249 offset:1632
	ds_load_b128 v[6:9], v249 offset:16320
	;; [unrolled: 1-line block ×5, first 2 shown]
	scratch_load_b128 v[64:67], off, off offset:16 ; 16-byte Folded Reload
	ds_load_b128 v[108:111], v249 offset:13056
	ds_load_b128 v[112:115], v249 offset:6528
	;; [unrolled: 1-line block ×4, first 2 shown]
	s_clause 0x1
	scratch_load_b128 v[68:71], off, off offset:48
	scratch_load_b128 v[72:75], off, off offset:64
	s_mov_b32 s2, 0xf8bb580b
	s_mov_b32 s8, 0x8764f0ba
	;; [unrolled: 1-line block ×14, first 2 shown]
	s_waitcnt lgkmcnt(3)
	v_mul_f64 v[38:39], v[90:91], v[108:109]
	v_mul_f64 v[36:37], v[82:83], v[104:105]
	;; [unrolled: 1-line block ×3, first 2 shown]
	s_waitcnt lgkmcnt(2)
	v_mul_f64 v[50:51], v[78:79], v[112:113]
	s_waitcnt lgkmcnt(0)
	v_mul_f64 v[52:53], v[86:87], v[122:123]
	v_mul_f64 v[46:47], v[78:79], v[114:115]
	;; [unrolled: 1-line block ×6, first 2 shown]
	s_mov_b32 s29, 0xbfe82f19
	s_mov_b32 s31, 0xbfe4f49e
	;; [unrolled: 1-line block ×16, first 2 shown]
	s_waitcnt vmcnt(3)
	v_mul_f64 v[4:5], v[24:25], v[2:3]
	v_mul_f64 v[18:19], v[24:25], v[0:1]
	ds_load_b128 v[24:27], v249 offset:9792
	s_waitcnt vmcnt(2)
	v_mul_f64 v[20:21], v[66:67], v[6:7]
	v_mul_f64 v[40:41], v[66:67], v[8:9]
	s_waitcnt vmcnt(1)
	v_mul_f64 v[28:29], v[70:71], v[10:11]
	s_waitcnt vmcnt(0)
	v_mul_f64 v[30:31], v[74:75], v[14:15]
	v_mul_f64 v[32:33], v[70:71], v[12:13]
	;; [unrolled: 1-line block ×3, first 2 shown]
	v_fma_f64 v[34:35], v[22:23], v[0:1], v[4:5]
	v_fma_f64 v[18:19], v[22:23], v[2:3], -v[18:19]
	ds_load_b128 v[0:3], v249
	s_waitcnt lgkmcnt(1)
	v_mul_f64 v[62:63], v[94:95], v[24:25]
	v_fma_f64 v[22:23], v[64:65], v[8:9], -v[20:21]
	v_fma_f64 v[12:13], v[68:69], v[12:13], -v[28:29]
	;; [unrolled: 1-line block ×3, first 2 shown]
	v_fma_f64 v[16:17], v[68:69], v[10:11], v[32:33]
	v_fma_f64 v[32:33], v[80:81], v[106:107], -v[36:37]
	v_fma_f64 v[8:9], v[88:89], v[110:111], -v[38:39]
	v_fma_f64 v[20:21], v[64:65], v[6:7], v[40:41]
	v_fma_f64 v[36:37], v[80:81], v[104:105], v[42:43]
	v_fma_f64 v[38:39], v[76:77], v[114:115], -v[50:51]
	v_fma_f64 v[40:41], v[84:85], v[120:121], v[52:53]
	v_mul_f64 v[60:61], v[94:95], v[26:27]
	v_fma_f64 v[6:7], v[72:73], v[14:15], v[44:45]
	v_fma_f64 v[14:15], v[76:77], v[112:113], v[46:47]
	;; [unrolled: 1-line block ×3, first 2 shown]
	v_fma_f64 v[46:47], v[96:97], v[118:119], -v[58:59]
	v_fma_f64 v[42:43], v[84:85], v[122:123], -v[54:55]
	v_fma_f64 v[44:45], v[96:97], v[116:117], v[56:57]
	s_waitcnt lgkmcnt(0)
	s_barrier
	buffer_gl0_inv
	v_add_f64 v[28:29], v[0:1], v[34:35]
	v_add_f64 v[30:31], v[2:3], v[18:19]
	v_fma_f64 v[26:27], v[92:93], v[26:27], -v[62:63]
	v_add_f64 v[48:49], v[18:19], -v[22:23]
	v_add_f64 v[18:19], v[18:19], v[22:23]
	v_add_f64 v[50:51], v[12:13], -v[4:5]
	v_add_f64 v[52:53], v[12:13], v[4:5]
	v_add_f64 v[54:55], v[32:33], v[8:9]
	;; [unrolled: 1-line block ×3, first 2 shown]
	v_add_f64 v[34:35], v[34:35], -v[20:21]
	v_fma_f64 v[24:25], v[92:93], v[24:25], v[60:61]
	v_add_f64 v[58:59], v[16:17], v[6:7]
	v_add_f64 v[64:65], v[14:15], v[40:41]
	v_add_f64 v[70:71], v[14:15], -v[40:41]
	v_add_f64 v[60:61], v[36:37], v[10:11]
	v_add_f64 v[66:67], v[38:39], v[42:43]
	v_add_f64 v[68:69], v[38:39], -v[42:43]
	v_add_f64 v[62:63], v[36:37], -v[10:11]
	v_add_f64 v[28:29], v[28:29], v[16:17]
	v_add_f64 v[12:13], v[30:31], v[12:13]
	v_add_f64 v[30:31], v[32:33], -v[8:9]
	v_add_f64 v[74:75], v[46:47], v[26:27]
	v_mul_f64 v[80:81], v[48:49], s[2:3]
	v_mul_f64 v[82:83], v[18:19], s[8:9]
	;; [unrolled: 1-line block ×10, first 2 shown]
	v_add_f64 v[16:17], v[16:17], -v[6:7]
	v_mul_f64 v[96:97], v[50:51], s[16:17]
	v_mul_f64 v[98:99], v[52:53], s[18:19]
	;; [unrolled: 1-line block ×10, first 2 shown]
	v_add_f64 v[72:73], v[44:45], v[24:25]
	v_add_f64 v[76:77], v[44:45], -v[24:25]
	v_add_f64 v[78:79], v[46:47], -v[26:27]
	v_mul_f64 v[54:55], v[54:55], s[30:31]
	v_mul_f64 v[124:125], v[68:69], s[28:29]
	;; [unrolled: 1-line block ×10, first 2 shown]
	v_add_f64 v[28:29], v[28:29], v[36:37]
	v_add_f64 v[12:13], v[12:13], v[32:33]
	v_mul_f64 v[32:33], v[52:53], s[30:31]
	v_mul_f64 v[142:143], v[74:75], s[38:39]
	;; [unrolled: 1-line block ×5, first 2 shown]
	v_fma_f64 v[156:157], v[56:57], s[18:19], v[84:85]
	v_fma_f64 v[158:159], v[34:35], s[20:21], v[86:87]
	v_mul_f64 v[36:37], v[50:51], s[40:41]
	v_fma_f64 v[84:85], v[56:57], s[18:19], -v[84:85]
	v_fma_f64 v[160:161], v[56:57], s[24:25], v[88:89]
	v_fma_f64 v[162:163], v[34:35], s[26:27], v[90:91]
	v_fma_f64 v[88:89], v[56:57], s[24:25], -v[88:89]
	v_fma_f64 v[164:165], v[56:57], s[30:31], v[92:93]
	v_fma_f64 v[166:167], v[34:35], s[34:35], v[94:95]
	v_mul_f64 v[50:51], v[50:51], s[10:11]
	v_mul_f64 v[52:53], v[52:53], s[8:9]
	v_fma_f64 v[92:93], v[56:57], s[30:31], -v[92:93]
	v_fma_f64 v[168:169], v[56:57], s[38:39], v[48:49]
	v_fma_f64 v[170:171], v[34:35], s[40:41], v[18:19]
	v_fma_f64 v[48:49], v[56:57], s[38:39], -v[48:49]
	v_fma_f64 v[18:19], v[34:35], s[36:37], v[18:19]
	v_fma_f64 v[94:95], v[34:35], s[28:29], v[94:95]
	;; [unrolled: 1-line block ×4, first 2 shown]
	v_mul_f64 v[108:109], v[30:31], s[22:23]
	v_mul_f64 v[112:113], v[30:31], s[40:41]
	v_fma_f64 v[172:173], v[58:59], s[30:31], v[100:101]
	v_mul_f64 v[116:117], v[30:31], s[20:21]
	v_fma_f64 v[100:101], v[58:59], s[30:31], -v[100:101]
	v_fma_f64 v[178:179], v[16:17], s[36:37], v[102:103]
	v_mul_f64 v[120:121], v[30:31], s[2:3]
	v_fma_f64 v[180:181], v[58:59], s[24:25], v[104:105]
	v_fma_f64 v[182:183], v[16:17], s[22:23], v[106:107]
	v_mul_f64 v[30:31], v[30:31], s[28:29]
	v_fma_f64 v[104:105], v[58:59], s[24:25], -v[104:105]
	v_fma_f64 v[102:103], v[16:17], s[40:41], v[102:103]
	v_add_f64 v[14:15], v[28:29], v[14:15]
	v_add_f64 v[12:13], v[12:13], v[38:39]
	v_mul_f64 v[28:29], v[74:75], s[24:25]
	v_fma_f64 v[38:39], v[56:57], s[8:9], v[80:81]
	v_fma_f64 v[74:75], v[34:35], s[10:11], v[82:83]
	v_fma_f64 v[80:81], v[56:57], s[8:9], -v[80:81]
	v_fma_f64 v[82:83], v[34:35], s[2:3], v[82:83]
	v_fma_f64 v[34:35], v[58:59], s[18:19], v[96:97]
	;; [unrolled: 1-line block ×3, first 2 shown]
	v_fma_f64 v[96:97], v[58:59], s[18:19], -v[96:97]
	v_fma_f64 v[98:99], v[16:17], s[16:17], v[98:99]
	v_fma_f64 v[174:175], v[16:17], s[34:35], v[32:33]
	v_add_f64 v[156:157], v[0:1], v[156:157]
	v_add_f64 v[158:159], v[2:3], v[158:159]
	v_fma_f64 v[176:177], v[58:59], s[38:39], v[36:37]
	v_add_f64 v[84:85], v[0:1], v[84:85]
	v_add_f64 v[160:161], v[0:1], v[160:161]
	;; [unrolled: 1-line block ×3, first 2 shown]
	v_fma_f64 v[36:37], v[58:59], s[38:39], -v[36:37]
	v_add_f64 v[88:89], v[0:1], v[88:89]
	v_add_f64 v[164:165], v[0:1], v[164:165]
	;; [unrolled: 1-line block ×6, first 2 shown]
	v_fma_f64 v[32:33], v[16:17], s[28:29], v[32:33]
	v_add_f64 v[18:19], v[2:3], v[18:19]
	v_add_f64 v[90:91], v[2:3], v[90:91]
	;; [unrolled: 1-line block ×3, first 2 shown]
	v_fma_f64 v[184:185], v[60:61], s[38:39], v[112:113]
	v_fma_f64 v[186:187], v[62:63], s[36:37], v[114:115]
	v_fma_f64 v[188:189], v[60:61], s[18:19], v[116:117]
	v_fma_f64 v[190:191], v[62:63], s[16:17], v[118:119]
	v_fma_f64 v[116:117], v[60:61], s[18:19], -v[116:117]
	v_mul_f64 v[66:67], v[66:67], s[18:19]
	v_fma_f64 v[118:119], v[62:63], s[20:21], v[118:119]
	v_fma_f64 v[112:113], v[60:61], s[38:39], -v[112:113]
	v_fma_f64 v[114:115], v[62:63], s[40:41], v[114:115]
	v_add_f64 v[14:15], v[14:15], v[44:45]
	v_add_f64 v[12:13], v[12:13], v[46:47]
	v_fma_f64 v[44:45], v[16:17], s[26:27], v[106:107]
	v_add_f64 v[38:39], v[0:1], v[38:39]
	v_fma_f64 v[46:47], v[58:59], s[8:9], v[50:51]
	v_add_f64 v[80:81], v[0:1], v[80:81]
	v_add_f64 v[82:83], v[2:3], v[82:83]
	v_fma_f64 v[106:107], v[16:17], s[2:3], v[52:53]
	v_fma_f64 v[50:51], v[58:59], s[8:9], -v[50:51]
	v_fma_f64 v[16:17], v[16:17], s[10:11], v[52:53]
	v_add_f64 v[0:1], v[0:1], v[48:49]
	v_add_f64 v[48:49], v[2:3], v[94:95]
	v_add_f64 v[2:3], v[2:3], v[74:75]
	v_fma_f64 v[52:53], v[60:61], s[24:25], v[108:109]
	v_fma_f64 v[58:59], v[62:63], s[26:27], v[110:111]
	v_fma_f64 v[108:109], v[60:61], s[24:25], -v[108:109]
	v_fma_f64 v[110:111], v[62:63], s[22:23], v[110:111]
	v_add_f64 v[84:85], v[100:101], v[84:85]
	v_add_f64 v[100:101], v[178:179], v[162:163]
	;; [unrolled: 1-line block ×4, first 2 shown]
	v_fma_f64 v[74:75], v[60:61], s[8:9], -v[120:121]
	v_fma_f64 v[94:95], v[62:63], s[2:3], v[122:123]
	v_add_f64 v[92:93], v[104:105], v[92:93]
	v_mul_f64 v[140:141], v[78:79], s[36:37]
	v_mul_f64 v[144:145], v[78:79], s[10:11]
	v_fma_f64 v[192:193], v[64:65], s[24:25], v[128:129]
	v_fma_f64 v[194:195], v[70:71], s[22:23], v[130:131]
	v_add_f64 v[32:33], v[32:33], v[86:87]
	v_mul_f64 v[148:149], v[78:79], s[28:29]
	v_mul_f64 v[152:153], v[78:79], s[20:21]
	v_fma_f64 v[86:87], v[70:71], s[40:41], v[138:139]
	v_mul_f64 v[78:79], v[78:79], s[22:23]
	v_fma_f64 v[128:129], v[64:65], s[24:25], -v[128:129]
	v_fma_f64 v[130:131], v[70:71], s[26:27], v[130:131]
	v_add_f64 v[14:15], v[14:15], v[24:25]
	v_add_f64 v[12:13], v[12:13], v[26:27]
	v_fma_f64 v[24:25], v[60:61], s[8:9], v[120:121]
	v_add_f64 v[34:35], v[34:35], v[38:39]
	v_fma_f64 v[26:27], v[62:63], s[10:11], v[122:123]
	v_add_f64 v[38:39], v[96:97], v[80:81]
	v_add_f64 v[80:81], v[98:99], v[82:83]
	;; [unrolled: 1-line block ×6, first 2 shown]
	v_fma_f64 v[120:121], v[60:61], s[30:31], v[30:31]
	v_fma_f64 v[122:123], v[62:63], s[34:35], v[54:55]
	v_add_f64 v[46:47], v[46:47], v[168:169]
	v_add_f64 v[104:105], v[106:107], v[170:171]
	v_fma_f64 v[30:31], v[60:61], s[30:31], -v[30:31]
	v_fma_f64 v[54:55], v[62:63], s[28:29], v[54:55]
	v_add_f64 v[0:1], v[50:51], v[0:1]
	v_add_f64 v[16:17], v[16:17], v[18:19]
	;; [unrolled: 1-line block ×5, first 2 shown]
	v_fma_f64 v[60:61], v[64:65], s[30:31], v[124:125]
	v_fma_f64 v[62:63], v[70:71], s[34:35], v[126:127]
	v_fma_f64 v[124:125], v[64:65], s[30:31], -v[124:125]
	v_fma_f64 v[126:127], v[70:71], s[28:29], v[126:127]
	v_fma_f64 v[48:49], v[64:65], s[8:9], -v[132:133]
	v_fma_f64 v[56:57], v[64:65], s[38:39], v[136:137]
	v_add_f64 v[36:37], v[116:117], v[36:37]
	v_fma_f64 v[106:107], v[64:65], s[18:19], v[68:69]
	v_fma_f64 v[90:91], v[64:65], s[38:39], -v[136:137]
	v_fma_f64 v[102:103], v[70:71], s[36:37], v[138:139]
	v_add_f64 v[74:75], v[74:75], v[92:93]
	v_fma_f64 v[50:51], v[70:71], s[2:3], v[134:135]
	v_add_f64 v[84:85], v[112:113], v[84:85]
	v_add_f64 v[32:33], v[114:115], v[32:33]
	v_fma_f64 v[136:137], v[76:77], s[36:37], v[142:143]
	v_fma_f64 v[112:113], v[76:77], s[16:17], v[154:155]
	v_add_f64 v[14:15], v[14:15], v[40:41]
	v_add_f64 v[12:13], v[12:13], v[42:43]
	v_fma_f64 v[40:41], v[64:65], s[8:9], v[132:133]
	v_add_f64 v[34:35], v[52:53], v[34:35]
	v_fma_f64 v[42:43], v[70:71], s[10:11], v[134:135]
	v_add_f64 v[38:39], v[108:109], v[38:39]
	v_add_f64 v[52:53], v[110:111], v[80:81]
	;; [unrolled: 1-line block ×8, first 2 shown]
	v_fma_f64 v[132:133], v[70:71], s[16:17], v[66:67]
	v_add_f64 v[46:47], v[120:121], v[46:47]
	v_add_f64 v[88:89], v[122:123], v[104:105]
	v_fma_f64 v[64:65], v[64:65], s[18:19], -v[68:69]
	v_fma_f64 v[66:67], v[70:71], s[20:21], v[66:67]
	v_add_f64 v[0:1], v[30:31], v[0:1]
	v_add_f64 v[16:17], v[54:55], v[16:17]
	;; [unrolled: 1-line block ×5, first 2 shown]
	v_fma_f64 v[68:69], v[72:73], s[38:39], v[140:141]
	v_fma_f64 v[134:135], v[72:73], s[38:39], -v[140:141]
	v_fma_f64 v[44:45], v[72:73], s[8:9], v[144:145]
	v_fma_f64 v[54:55], v[76:77], s[2:3], v[146:147]
	;; [unrolled: 1-line block ×7, first 2 shown]
	v_add_f64 v[36:37], v[48:49], v[36:37]
	v_fma_f64 v[118:119], v[72:73], s[24:25], v[78:79]
	v_fma_f64 v[58:59], v[72:73], s[8:9], -v[144:145]
	v_fma_f64 v[104:105], v[72:73], s[30:31], -v[148:149]
	;; [unrolled: 1-line block ×4, first 2 shown]
	v_add_f64 v[10:11], v[14:15], v[10:11]
	v_add_f64 v[8:9], v[12:13], v[8:9]
	v_fma_f64 v[116:117], v[76:77], s[20:21], v[154:155]
	v_add_f64 v[12:13], v[60:61], v[34:35]
	v_fma_f64 v[108:109], v[76:77], s[28:29], v[150:151]
	v_add_f64 v[14:15], v[124:125], v[38:39]
	v_add_f64 v[28:29], v[126:127], v[52:53]
	;; [unrolled: 1-line block ×11, first 2 shown]
	v_fma_f64 v[92:93], v[76:77], s[10:11], v[146:147]
	v_add_f64 v[52:53], v[128:129], v[84:85]
	v_add_f64 v[0:1], v[64:65], v[0:1]
	;; [unrolled: 1-line block ×6, first 2 shown]
	v_fma_f64 v[70:71], v[76:77], s[40:41], v[142:143]
	v_add_f64 v[62:63], v[62:63], v[2:3]
	v_add_f64 v[74:75], v[10:11], v[6:7]
	;; [unrolled: 1-line block ×25, first 2 shown]
	ds_store_b128 v251, v[28:31] offset:544
	ds_store_b128 v251, v[32:35] offset:816
	;; [unrolled: 1-line block ×9, first 2 shown]
	ds_store_b128 v251, v[20:23]
	ds_store_b128 v251, v[24:27] offset:272
	s_waitcnt lgkmcnt(0)
	s_barrier
	buffer_gl0_inv
	ds_load_b128 v[20:23], v249
	ds_load_b128 v[24:27], v249 offset:2992
	ds_load_b128 v[28:31], v249 offset:5984
	;; [unrolled: 1-line block ×5, first 2 shown]
	s_and_saveexec_b32 s1, s0
	s_cbranch_execz .LBB0_19
; %bb.18:
	ds_load_b128 v[0:3], v249 offset:1632
	ds_load_b128 v[4:7], v249 offset:4624
	;; [unrolled: 1-line block ×6, first 2 shown]
.LBB0_19:
	s_or_b32 exec_lo, exec_lo, s1
	s_clause 0x3
	scratch_load_b128 v[64:67], off, off offset:112
	scratch_load_b128 v[70:73], off, off offset:144
	;; [unrolled: 1-line block ×4, first 2 shown]
	s_mov_b32 s2, 0xe8584caa
	s_mov_b32 s3, 0xbfebb67a
	;; [unrolled: 1-line block ×4, first 2 shown]
	s_waitcnt vmcnt(3) lgkmcnt(4)
	v_mul_f64 v[40:41], v[66:67], v[24:25]
	v_mul_f64 v[46:47], v[66:67], v[26:27]
	scratch_load_b128 v[66:69], off, off offset:128 ; 16-byte Folded Reload
	s_waitcnt vmcnt(2) lgkmcnt(2)
	v_mul_f64 v[36:37], v[58:59], v[76:77]
	s_waitcnt vmcnt(1) lgkmcnt(0)
	v_mul_f64 v[38:39], v[62:63], v[80:81]
	v_mul_f64 v[42:43], v[58:59], v[78:79]
	;; [unrolled: 1-line block ×5, first 2 shown]
	v_fma_f64 v[26:27], v[64:65], v[26:27], -v[40:41]
	v_fma_f64 v[24:25], v[64:65], v[24:25], v[46:47]
	v_fma_f64 v[36:37], v[56:57], v[78:79], -v[36:37]
	v_fma_f64 v[38:39], v[60:61], v[82:83], -v[38:39]
	v_fma_f64 v[42:43], v[56:57], v[76:77], v[42:43]
	v_fma_f64 v[44:45], v[60:61], v[80:81], v[44:45]
	;; [unrolled: 1-line block ×3, first 2 shown]
	v_fma_f64 v[30:31], v[70:71], v[30:31], -v[50:51]
	v_add_f64 v[40:41], v[36:37], v[38:39]
	s_delay_alu instid0(VALU_DEP_4) | instskip(SKIP_1) | instid1(VALU_DEP_3)
	v_add_f64 v[46:47], v[42:43], v[44:45]
	v_add_f64 v[48:49], v[42:43], -v[44:45]
	v_fma_f64 v[40:41], v[40:41], -0.5, v[26:27]
	v_add_f64 v[26:27], v[26:27], v[36:37]
	s_delay_alu instid0(VALU_DEP_4) | instskip(SKIP_1) | instid1(VALU_DEP_4)
	v_fma_f64 v[46:47], v[46:47], -0.5, v[24:25]
	v_add_f64 v[24:25], v[24:25], v[42:43]
	v_fma_f64 v[56:57], v[48:49], s[8:9], v[40:41]
	v_fma_f64 v[40:41], v[48:49], s[2:3], v[40:41]
	v_add_f64 v[48:49], v[20:21], v[28:29]
	s_delay_alu instid0(VALU_DEP_4) | instskip(SKIP_4) | instid1(VALU_DEP_2)
	v_add_f64 v[24:25], v[24:25], v[44:45]
	v_add_f64 v[26:27], v[26:27], v[38:39]
	s_waitcnt vmcnt(0)
	v_mul_f64 v[52:53], v[68:69], v[34:35]
	v_mul_f64 v[54:55], v[68:69], v[32:33]
	v_fma_f64 v[32:33], v[66:67], v[32:33], v[52:53]
	s_delay_alu instid0(VALU_DEP_2) | instskip(SKIP_1) | instid1(VALU_DEP_3)
	v_fma_f64 v[34:35], v[66:67], v[34:35], -v[54:55]
	v_add_f64 v[54:55], v[36:37], -v[38:39]
	v_add_f64 v[50:51], v[28:29], v[32:33]
	s_delay_alu instid0(VALU_DEP_3)
	v_add_f64 v[52:53], v[30:31], v[34:35]
	v_add_f64 v[58:59], v[30:31], -v[34:35]
	v_add_f64 v[30:31], v[22:23], v[30:31]
	v_add_f64 v[28:29], v[28:29], -v[32:33]
	v_fma_f64 v[36:37], v[54:55], s[2:3], v[46:47]
	v_fma_f64 v[42:43], v[54:55], s[8:9], v[46:47]
	v_mul_f64 v[46:47], v[56:57], s[2:3]
	v_add_f64 v[32:33], v[48:49], v[32:33]
	v_fma_f64 v[20:21], v[50:51], -0.5, v[20:21]
	v_fma_f64 v[22:23], v[52:53], -0.5, v[22:23]
	v_mul_f64 v[52:53], v[56:57], 0.5
	v_mul_f64 v[50:51], v[40:41], s[2:3]
	v_mul_f64 v[40:41], v[40:41], -0.5
	v_add_f64 v[30:31], v[30:31], v[34:35]
	v_fma_f64 v[46:47], v[36:37], 0.5, v[46:47]
	v_fma_f64 v[38:39], v[58:59], s[2:3], v[20:21]
	v_fma_f64 v[48:49], v[28:29], s[8:9], v[22:23]
	;; [unrolled: 1-line block ×5, first 2 shown]
	v_fma_f64 v[50:51], v[42:43], -0.5, v[50:51]
	v_fma_f64 v[40:41], v[42:43], s[8:9], v[40:41]
	v_add_f64 v[20:21], v[32:33], v[24:25]
	v_add_f64 v[22:23], v[30:31], v[26:27]
	v_add_f64 v[26:27], v[30:31], -v[26:27]
	v_add_f64 v[24:25], v[32:33], -v[24:25]
	v_add_f64 v[28:29], v[38:39], v[46:47]
	v_add_f64 v[56:57], v[38:39], -v[46:47]
	v_add_f64 v[30:31], v[48:49], v[36:37]
	;; [unrolled: 2-line block ×3, first 2 shown]
	v_add_f64 v[34:35], v[54:55], v[40:41]
	v_add_f64 v[60:61], v[44:45], -v[50:51]
	v_add_f64 v[62:63], v[54:55], -v[40:41]
	ds_store_b128 v250, v[20:23]
	ds_store_b128 v250, v[28:31] offset:2992
	ds_store_b128 v250, v[32:35] offset:5984
	;; [unrolled: 1-line block ×5, first 2 shown]
	s_and_saveexec_b32 s1, s0
	s_cbranch_execz .LBB0_21
; %bb.20:
	s_clause 0x1
	scratch_load_b128 v[42:45], off, off offset:176
	scratch_load_b128 v[38:41], off, off offset:160
	v_mul_f64 v[20:21], v[226:227], v[16:17]
	v_mul_f64 v[24:25], v[226:227], v[18:19]
	;; [unrolled: 1-line block ×6, first 2 shown]
	v_fma_f64 v[18:19], v[224:225], v[18:19], -v[20:21]
	v_fma_f64 v[16:17], v[224:225], v[16:17], v[24:25]
	v_fma_f64 v[6:7], v[228:229], v[6:7], -v[28:29]
	v_fma_f64 v[14:15], v[232:233], v[14:15], -v[30:31]
	v_fma_f64 v[12:13], v[232:233], v[12:13], v[34:35]
	v_fma_f64 v[4:5], v[228:229], v[4:5], v[36:37]
	s_waitcnt vmcnt(1)
	v_mul_f64 v[22:23], v[44:45], v[196:197]
	v_mul_f64 v[26:27], v[44:45], v[198:199]
	s_waitcnt vmcnt(0)
	v_mul_f64 v[32:33], v[40:41], v[10:11]
	s_delay_alu instid0(VALU_DEP_3) | instskip(SKIP_1) | instid1(VALU_DEP_4)
	v_fma_f64 v[20:21], v[42:43], v[198:199], -v[22:23]
	v_mul_f64 v[22:23], v[40:41], v[8:9]
	v_fma_f64 v[24:25], v[42:43], v[196:197], v[26:27]
	s_delay_alu instid0(VALU_DEP_4) | instskip(NEXT) | instid1(VALU_DEP_4)
	v_fma_f64 v[8:9], v[38:39], v[8:9], v[32:33]
	v_add_f64 v[26:27], v[18:19], v[20:21]
	s_delay_alu instid0(VALU_DEP_4) | instskip(NEXT) | instid1(VALU_DEP_4)
	v_fma_f64 v[10:11], v[38:39], v[10:11], -v[22:23]
	v_add_f64 v[22:23], v[16:17], v[24:25]
	v_add_f64 v[28:29], v[16:17], -v[24:25]
	v_add_f64 v[32:33], v[18:19], -v[20:21]
	v_add_f64 v[34:35], v[8:9], v[12:13]
	v_fma_f64 v[26:27], v[26:27], -0.5, v[6:7]
	v_add_f64 v[30:31], v[10:11], v[14:15]
	v_fma_f64 v[22:23], v[22:23], -0.5, v[4:5]
	v_add_f64 v[38:39], v[2:3], v[10:11]
	v_add_f64 v[6:7], v[6:7], v[18:19]
	;; [unrolled: 1-line block ×3, first 2 shown]
	v_add_f64 v[10:11], v[10:11], -v[14:15]
	v_fma_f64 v[36:37], v[28:29], s[2:3], v[26:27]
	v_fma_f64 v[26:27], v[28:29], s[8:9], v[26:27]
	v_add_f64 v[28:29], v[8:9], -v[12:13]
	v_add_f64 v[8:9], v[0:1], v[8:9]
	v_fma_f64 v[2:3], v[30:31], -0.5, v[2:3]
	v_fma_f64 v[0:1], v[34:35], -0.5, v[0:1]
	v_fma_f64 v[16:17], v[32:33], s[8:9], v[22:23]
	v_fma_f64 v[22:23], v[32:33], s[2:3], v[22:23]
	v_add_f64 v[14:15], v[38:39], v[14:15]
	v_add_f64 v[6:7], v[6:7], v[20:21]
	;; [unrolled: 1-line block ×3, first 2 shown]
	v_mul_f64 v[18:19], v[36:37], -0.5
	v_mul_f64 v[30:31], v[26:27], 0.5
	v_mul_f64 v[26:27], v[26:27], s[2:3]
	v_mul_f64 v[32:33], v[36:37], s[2:3]
	v_add_f64 v[8:9], v[8:9], v[12:13]
	v_fma_f64 v[12:13], v[28:29], s[2:3], v[2:3]
	v_fma_f64 v[20:21], v[28:29], s[8:9], v[2:3]
	v_fma_f64 v[28:29], v[10:11], s[2:3], v[0:1]
	v_fma_f64 v[24:25], v[10:11], s[8:9], v[0:1]
	v_add_f64 v[2:3], v[14:15], -v[6:7]
	v_add_f64 v[6:7], v[14:15], v[6:7]
	v_fma_f64 v[18:19], v[16:17], s[8:9], v[18:19]
	v_fma_f64 v[30:31], v[22:23], s[8:9], v[30:31]
	v_fma_f64 v[26:27], v[22:23], 0.5, v[26:27]
	v_fma_f64 v[32:33], v[16:17], -0.5, v[32:33]
	v_add_f64 v[0:1], v[8:9], -v[4:5]
	v_add_f64 v[4:5], v[8:9], v[4:5]
	v_add_f64 v[10:11], v[12:13], -v[18:19]
	v_add_f64 v[14:15], v[12:13], v[18:19]
	v_add_f64 v[18:19], v[20:21], v[30:31]
	;; [unrolled: 1-line block ×4, first 2 shown]
	v_add_f64 v[22:23], v[20:21], -v[30:31]
	v_add_f64 v[20:21], v[28:29], -v[26:27]
	;; [unrolled: 1-line block ×3, first 2 shown]
	ds_store_b128 v250, v[4:7] offset:1632
	ds_store_b128 v250, v[16:19] offset:4624
	;; [unrolled: 1-line block ×6, first 2 shown]
.LBB0_21:
	s_or_b32 exec_lo, exec_lo, s1
	s_waitcnt lgkmcnt(0)
	s_barrier
	buffer_gl0_inv
	s_and_b32 exec_lo, exec_lo, vcc_lo
	s_cbranch_execz .LBB0_23
; %bb.22:
	global_load_b128 v[0:3], v255, s[12:13]
	ds_load_b128 v[4:7], v250
	ds_load_b128 v[8:11], v250 offset:1056
	s_mov_b32 s0, 0x4bc01d34
	s_mov_b32 s1, 0x3f4d347a
	s_mul_i32 s2, s5, 0x420
	s_mul_i32 s3, s4, 0x420
	scratch_load_b32 v16, off, off          ; 4-byte Folded Reload
	s_waitcnt vmcnt(1) lgkmcnt(1)
	v_mul_f64 v[12:13], v[6:7], v[2:3]
	v_mul_f64 v[2:3], v[4:5], v[2:3]
	s_delay_alu instid0(VALU_DEP_2) | instskip(NEXT) | instid1(VALU_DEP_2)
	v_fma_f64 v[4:5], v[4:5], v[0:1], v[12:13]
	v_fma_f64 v[2:3], v[0:1], v[6:7], -v[2:3]
	scratch_load_b64 v[0:1], off, off offset:4 ; 8-byte Folded Reload
	s_waitcnt vmcnt(1)
	v_mad_u64_u32 v[12:13], null, s4, v16, 0
	v_mul_f64 v[2:3], v[2:3], s[0:1]
	s_waitcnt vmcnt(0)
	v_mov_b32_e32 v15, v0
	v_mul_f64 v[0:1], v[4:5], s[0:1]
	s_delay_alu instid0(VALU_DEP_4) | instskip(NEXT) | instid1(VALU_DEP_3)
	v_mov_b32_e32 v5, v13
	v_mad_u64_u32 v[6:7], null, s6, v15, 0
	s_delay_alu instid0(VALU_DEP_1) | instskip(NEXT) | instid1(VALU_DEP_1)
	v_mov_b32_e32 v4, v7
	v_mad_u64_u32 v[13:14], null, s7, v15, v[4:5]
	s_delay_alu instid0(VALU_DEP_3) | instskip(SKIP_3) | instid1(VALU_DEP_3)
	v_mad_u64_u32 v[14:15], null, s5, v16, v[5:6]
	s_mul_hi_u32 s5, s4, 0x420
	v_add_co_u32 v18, s4, s12, v255
	s_add_i32 s2, s5, s2
	v_mov_b32_e32 v7, v13
	v_add_co_ci_u32_e64 v19, null, s13, 0, s4
	s_delay_alu instid0(VALU_DEP_4) | instskip(NEXT) | instid1(VALU_DEP_3)
	v_mov_b32_e32 v13, v14
	v_lshlrev_b64 v[4:5], 4, v[6:7]
	s_delay_alu instid0(VALU_DEP_2) | instskip(NEXT) | instid1(VALU_DEP_2)
	v_lshlrev_b64 v[6:7], 4, v[12:13]
	v_add_co_u32 v4, vcc_lo, s14, v4
	s_delay_alu instid0(VALU_DEP_3) | instskip(NEXT) | instid1(VALU_DEP_2)
	v_add_co_ci_u32_e32 v5, vcc_lo, s15, v5, vcc_lo
	v_add_co_u32 v4, vcc_lo, v4, v6
	s_delay_alu instid0(VALU_DEP_2) | instskip(NEXT) | instid1(VALU_DEP_2)
	v_add_co_ci_u32_e32 v5, vcc_lo, v5, v7, vcc_lo
	v_add_co_u32 v12, vcc_lo, v4, s3
	global_store_b128 v[4:5], v[0:3], off
	global_load_b128 v[0:3], v255, s[12:13] offset:1056
	v_add_co_ci_u32_e32 v13, vcc_lo, s2, v5, vcc_lo
	s_waitcnt vmcnt(0) lgkmcnt(0)
	v_mul_f64 v[6:7], v[10:11], v[2:3]
	v_mul_f64 v[2:3], v[8:9], v[2:3]
	s_delay_alu instid0(VALU_DEP_2) | instskip(NEXT) | instid1(VALU_DEP_2)
	v_fma_f64 v[6:7], v[8:9], v[0:1], v[6:7]
	v_fma_f64 v[2:3], v[0:1], v[10:11], -v[2:3]
	s_delay_alu instid0(VALU_DEP_2) | instskip(NEXT) | instid1(VALU_DEP_2)
	v_mul_f64 v[0:1], v[6:7], s[0:1]
	v_mul_f64 v[2:3], v[2:3], s[0:1]
	global_store_b128 v[12:13], v[0:3], off
	global_load_b128 v[0:3], v255, s[12:13] offset:2112
	ds_load_b128 v[4:7], v250 offset:2112
	ds_load_b128 v[8:11], v250 offset:3168
	s_waitcnt vmcnt(0) lgkmcnt(1)
	v_mul_f64 v[14:15], v[6:7], v[2:3]
	v_mul_f64 v[2:3], v[4:5], v[2:3]
	s_delay_alu instid0(VALU_DEP_2) | instskip(NEXT) | instid1(VALU_DEP_2)
	v_fma_f64 v[4:5], v[4:5], v[0:1], v[14:15]
	v_fma_f64 v[2:3], v[0:1], v[6:7], -v[2:3]
	s_delay_alu instid0(VALU_DEP_2) | instskip(NEXT) | instid1(VALU_DEP_2)
	v_mul_f64 v[0:1], v[4:5], s[0:1]
	v_mul_f64 v[2:3], v[2:3], s[0:1]
	v_add_co_u32 v4, vcc_lo, v12, s3
	v_add_co_ci_u32_e32 v5, vcc_lo, s2, v13, vcc_lo
	s_delay_alu instid0(VALU_DEP_2) | instskip(NEXT) | instid1(VALU_DEP_2)
	v_add_co_u32 v12, vcc_lo, v4, s3
	v_add_co_ci_u32_e32 v13, vcc_lo, s2, v5, vcc_lo
	v_add_co_u32 v14, vcc_lo, 0x1000, v18
	v_add_co_ci_u32_e32 v15, vcc_lo, 0, v19, vcc_lo
	global_store_b128 v[4:5], v[0:3], off
	global_load_b128 v[0:3], v255, s[12:13] offset:3168
	s_waitcnt vmcnt(0) lgkmcnt(0)
	v_mul_f64 v[6:7], v[10:11], v[2:3]
	v_mul_f64 v[2:3], v[8:9], v[2:3]
	s_delay_alu instid0(VALU_DEP_2) | instskip(NEXT) | instid1(VALU_DEP_2)
	v_fma_f64 v[6:7], v[8:9], v[0:1], v[6:7]
	v_fma_f64 v[2:3], v[0:1], v[10:11], -v[2:3]
	s_delay_alu instid0(VALU_DEP_2) | instskip(NEXT) | instid1(VALU_DEP_2)
	v_mul_f64 v[0:1], v[6:7], s[0:1]
	v_mul_f64 v[2:3], v[2:3], s[0:1]
	global_store_b128 v[12:13], v[0:3], off
	global_load_b128 v[0:3], v[14:15], off offset:128
	ds_load_b128 v[4:7], v250 offset:4224
	ds_load_b128 v[8:11], v250 offset:5280
	s_waitcnt vmcnt(0) lgkmcnt(1)
	v_mul_f64 v[16:17], v[6:7], v[2:3]
	v_mul_f64 v[2:3], v[4:5], v[2:3]
	s_delay_alu instid0(VALU_DEP_2) | instskip(NEXT) | instid1(VALU_DEP_2)
	v_fma_f64 v[4:5], v[4:5], v[0:1], v[16:17]
	v_fma_f64 v[2:3], v[0:1], v[6:7], -v[2:3]
	s_delay_alu instid0(VALU_DEP_2) | instskip(NEXT) | instid1(VALU_DEP_2)
	v_mul_f64 v[0:1], v[4:5], s[0:1]
	v_mul_f64 v[2:3], v[2:3], s[0:1]
	v_add_co_u32 v4, vcc_lo, v12, s3
	v_add_co_ci_u32_e32 v5, vcc_lo, s2, v13, vcc_lo
	s_delay_alu instid0(VALU_DEP_2) | instskip(NEXT) | instid1(VALU_DEP_2)
	v_add_co_u32 v12, vcc_lo, v4, s3
	v_add_co_ci_u32_e32 v13, vcc_lo, s2, v5, vcc_lo
	global_store_b128 v[4:5], v[0:3], off
	global_load_b128 v[0:3], v[14:15], off offset:1184
	s_waitcnt vmcnt(0) lgkmcnt(0)
	v_mul_f64 v[6:7], v[10:11], v[2:3]
	v_mul_f64 v[2:3], v[8:9], v[2:3]
	s_delay_alu instid0(VALU_DEP_2) | instskip(NEXT) | instid1(VALU_DEP_2)
	v_fma_f64 v[6:7], v[8:9], v[0:1], v[6:7]
	v_fma_f64 v[2:3], v[0:1], v[10:11], -v[2:3]
	s_delay_alu instid0(VALU_DEP_2) | instskip(NEXT) | instid1(VALU_DEP_2)
	v_mul_f64 v[0:1], v[6:7], s[0:1]
	v_mul_f64 v[2:3], v[2:3], s[0:1]
	global_store_b128 v[12:13], v[0:3], off
	global_load_b128 v[0:3], v[14:15], off offset:2240
	ds_load_b128 v[4:7], v250 offset:6336
	ds_load_b128 v[8:11], v250 offset:7392
	s_waitcnt vmcnt(0) lgkmcnt(1)
	v_mul_f64 v[16:17], v[6:7], v[2:3]
	v_mul_f64 v[2:3], v[4:5], v[2:3]
	s_delay_alu instid0(VALU_DEP_2) | instskip(NEXT) | instid1(VALU_DEP_2)
	v_fma_f64 v[4:5], v[4:5], v[0:1], v[16:17]
	v_fma_f64 v[2:3], v[0:1], v[6:7], -v[2:3]
	s_delay_alu instid0(VALU_DEP_2) | instskip(NEXT) | instid1(VALU_DEP_2)
	v_mul_f64 v[0:1], v[4:5], s[0:1]
	v_mul_f64 v[2:3], v[2:3], s[0:1]
	v_add_co_u32 v4, vcc_lo, v12, s3
	v_add_co_ci_u32_e32 v5, vcc_lo, s2, v13, vcc_lo
	s_delay_alu instid0(VALU_DEP_2) | instskip(NEXT) | instid1(VALU_DEP_2)
	v_add_co_u32 v12, vcc_lo, v4, s3
	v_add_co_ci_u32_e32 v13, vcc_lo, s2, v5, vcc_lo
	global_store_b128 v[4:5], v[0:3], off
	global_load_b128 v[0:3], v[14:15], off offset:3296
	v_add_co_u32 v14, vcc_lo, 0x2000, v18
	v_add_co_ci_u32_e32 v15, vcc_lo, 0, v19, vcc_lo
	s_waitcnt vmcnt(0) lgkmcnt(0)
	v_mul_f64 v[6:7], v[10:11], v[2:3]
	v_mul_f64 v[2:3], v[8:9], v[2:3]
	s_delay_alu instid0(VALU_DEP_2) | instskip(NEXT) | instid1(VALU_DEP_2)
	v_fma_f64 v[6:7], v[8:9], v[0:1], v[6:7]
	v_fma_f64 v[2:3], v[0:1], v[10:11], -v[2:3]
	s_delay_alu instid0(VALU_DEP_2) | instskip(NEXT) | instid1(VALU_DEP_2)
	v_mul_f64 v[0:1], v[6:7], s[0:1]
	v_mul_f64 v[2:3], v[2:3], s[0:1]
	global_store_b128 v[12:13], v[0:3], off
	global_load_b128 v[0:3], v[14:15], off offset:256
	ds_load_b128 v[4:7], v250 offset:8448
	ds_load_b128 v[8:11], v250 offset:9504
	s_waitcnt vmcnt(0) lgkmcnt(1)
	v_mul_f64 v[16:17], v[6:7], v[2:3]
	v_mul_f64 v[2:3], v[4:5], v[2:3]
	s_delay_alu instid0(VALU_DEP_2) | instskip(NEXT) | instid1(VALU_DEP_2)
	v_fma_f64 v[4:5], v[4:5], v[0:1], v[16:17]
	v_fma_f64 v[2:3], v[0:1], v[6:7], -v[2:3]
	s_delay_alu instid0(VALU_DEP_2) | instskip(NEXT) | instid1(VALU_DEP_2)
	v_mul_f64 v[0:1], v[4:5], s[0:1]
	v_mul_f64 v[2:3], v[2:3], s[0:1]
	v_add_co_u32 v4, vcc_lo, v12, s3
	v_add_co_ci_u32_e32 v5, vcc_lo, s2, v13, vcc_lo
	s_delay_alu instid0(VALU_DEP_2) | instskip(NEXT) | instid1(VALU_DEP_2)
	v_add_co_u32 v12, vcc_lo, v4, s3
	v_add_co_ci_u32_e32 v13, vcc_lo, s2, v5, vcc_lo
	global_store_b128 v[4:5], v[0:3], off
	global_load_b128 v[0:3], v[14:15], off offset:1312
	s_waitcnt vmcnt(0) lgkmcnt(0)
	v_mul_f64 v[6:7], v[10:11], v[2:3]
	v_mul_f64 v[2:3], v[8:9], v[2:3]
	s_delay_alu instid0(VALU_DEP_2) | instskip(NEXT) | instid1(VALU_DEP_2)
	v_fma_f64 v[6:7], v[8:9], v[0:1], v[6:7]
	v_fma_f64 v[2:3], v[0:1], v[10:11], -v[2:3]
	s_delay_alu instid0(VALU_DEP_2) | instskip(NEXT) | instid1(VALU_DEP_2)
	v_mul_f64 v[0:1], v[6:7], s[0:1]
	v_mul_f64 v[2:3], v[2:3], s[0:1]
	global_store_b128 v[12:13], v[0:3], off
	global_load_b128 v[0:3], v[14:15], off offset:2368
	ds_load_b128 v[4:7], v250 offset:10560
	ds_load_b128 v[8:11], v250 offset:11616
	s_waitcnt vmcnt(0) lgkmcnt(1)
	v_mul_f64 v[16:17], v[6:7], v[2:3]
	v_mul_f64 v[2:3], v[4:5], v[2:3]
	s_delay_alu instid0(VALU_DEP_2) | instskip(NEXT) | instid1(VALU_DEP_2)
	v_fma_f64 v[4:5], v[4:5], v[0:1], v[16:17]
	v_fma_f64 v[2:3], v[0:1], v[6:7], -v[2:3]
	s_delay_alu instid0(VALU_DEP_2) | instskip(NEXT) | instid1(VALU_DEP_2)
	v_mul_f64 v[0:1], v[4:5], s[0:1]
	v_mul_f64 v[2:3], v[2:3], s[0:1]
	v_add_co_u32 v4, vcc_lo, v12, s3
	v_add_co_ci_u32_e32 v5, vcc_lo, s2, v13, vcc_lo
	s_delay_alu instid0(VALU_DEP_2) | instskip(NEXT) | instid1(VALU_DEP_2)
	v_add_co_u32 v12, vcc_lo, v4, s3
	v_add_co_ci_u32_e32 v13, vcc_lo, s2, v5, vcc_lo
	global_store_b128 v[4:5], v[0:3], off
	global_load_b128 v[0:3], v[14:15], off offset:3424
	v_add_co_u32 v14, vcc_lo, 0x3000, v18
	v_add_co_ci_u32_e32 v15, vcc_lo, 0, v19, vcc_lo
	s_waitcnt vmcnt(0) lgkmcnt(0)
	v_mul_f64 v[6:7], v[10:11], v[2:3]
	v_mul_f64 v[2:3], v[8:9], v[2:3]
	s_delay_alu instid0(VALU_DEP_2) | instskip(NEXT) | instid1(VALU_DEP_2)
	v_fma_f64 v[6:7], v[8:9], v[0:1], v[6:7]
	v_fma_f64 v[2:3], v[0:1], v[10:11], -v[2:3]
	s_delay_alu instid0(VALU_DEP_2) | instskip(NEXT) | instid1(VALU_DEP_2)
	v_mul_f64 v[0:1], v[6:7], s[0:1]
	v_mul_f64 v[2:3], v[2:3], s[0:1]
	global_store_b128 v[12:13], v[0:3], off
	global_load_b128 v[0:3], v[14:15], off offset:384
	ds_load_b128 v[4:7], v250 offset:12672
	ds_load_b128 v[8:11], v250 offset:13728
	s_waitcnt vmcnt(0) lgkmcnt(1)
	v_mul_f64 v[16:17], v[6:7], v[2:3]
	v_mul_f64 v[2:3], v[4:5], v[2:3]
	s_delay_alu instid0(VALU_DEP_2) | instskip(NEXT) | instid1(VALU_DEP_2)
	v_fma_f64 v[4:5], v[4:5], v[0:1], v[16:17]
	v_fma_f64 v[2:3], v[0:1], v[6:7], -v[2:3]
	s_delay_alu instid0(VALU_DEP_2) | instskip(NEXT) | instid1(VALU_DEP_2)
	v_mul_f64 v[0:1], v[4:5], s[0:1]
	v_mul_f64 v[2:3], v[2:3], s[0:1]
	v_add_co_u32 v4, vcc_lo, v12, s3
	v_add_co_ci_u32_e32 v5, vcc_lo, s2, v13, vcc_lo
	s_delay_alu instid0(VALU_DEP_2) | instskip(NEXT) | instid1(VALU_DEP_2)
	v_add_co_u32 v12, vcc_lo, v4, s3
	v_add_co_ci_u32_e32 v13, vcc_lo, s2, v5, vcc_lo
	global_store_b128 v[4:5], v[0:3], off
	global_load_b128 v[0:3], v[14:15], off offset:1440
	s_waitcnt vmcnt(0) lgkmcnt(0)
	v_mul_f64 v[6:7], v[10:11], v[2:3]
	v_mul_f64 v[2:3], v[8:9], v[2:3]
	s_delay_alu instid0(VALU_DEP_2) | instskip(NEXT) | instid1(VALU_DEP_2)
	v_fma_f64 v[6:7], v[8:9], v[0:1], v[6:7]
	v_fma_f64 v[2:3], v[0:1], v[10:11], -v[2:3]
	s_delay_alu instid0(VALU_DEP_2) | instskip(NEXT) | instid1(VALU_DEP_2)
	v_mul_f64 v[0:1], v[6:7], s[0:1]
	v_mul_f64 v[2:3], v[2:3], s[0:1]
	global_store_b128 v[12:13], v[0:3], off
	global_load_b128 v[0:3], v[14:15], off offset:2496
	ds_load_b128 v[4:7], v250 offset:14784
	ds_load_b128 v[8:11], v250 offset:15840
	s_waitcnt vmcnt(0) lgkmcnt(1)
	v_mul_f64 v[16:17], v[6:7], v[2:3]
	v_mul_f64 v[2:3], v[4:5], v[2:3]
	s_delay_alu instid0(VALU_DEP_2) | instskip(NEXT) | instid1(VALU_DEP_2)
	v_fma_f64 v[4:5], v[4:5], v[0:1], v[16:17]
	v_fma_f64 v[2:3], v[0:1], v[6:7], -v[2:3]
	s_delay_alu instid0(VALU_DEP_2) | instskip(NEXT) | instid1(VALU_DEP_2)
	v_mul_f64 v[0:1], v[4:5], s[0:1]
	v_mul_f64 v[2:3], v[2:3], s[0:1]
	v_add_co_u32 v4, vcc_lo, v12, s3
	v_add_co_ci_u32_e32 v5, vcc_lo, s2, v13, vcc_lo
	global_store_b128 v[4:5], v[0:3], off
	global_load_b128 v[0:3], v[14:15], off offset:3552
	s_waitcnt vmcnt(0) lgkmcnt(0)
	v_mul_f64 v[6:7], v[10:11], v[2:3]
	v_mul_f64 v[2:3], v[8:9], v[2:3]
	s_delay_alu instid0(VALU_DEP_2) | instskip(NEXT) | instid1(VALU_DEP_2)
	v_fma_f64 v[6:7], v[8:9], v[0:1], v[6:7]
	v_fma_f64 v[2:3], v[0:1], v[10:11], -v[2:3]
	v_add_co_u32 v8, vcc_lo, v4, s3
	v_add_co_ci_u32_e32 v9, vcc_lo, s2, v5, vcc_lo
	v_add_co_u32 v4, vcc_lo, 0x4000, v18
	v_add_co_ci_u32_e32 v5, vcc_lo, 0, v19, vcc_lo
	v_mul_f64 v[0:1], v[6:7], s[0:1]
	v_mul_f64 v[2:3], v[2:3], s[0:1]
	global_store_b128 v[8:9], v[0:3], off
	global_load_b128 v[0:3], v[4:5], off offset:512
	ds_load_b128 v[4:7], v250 offset:16896
	s_waitcnt vmcnt(0) lgkmcnt(0)
	v_mul_f64 v[10:11], v[6:7], v[2:3]
	v_mul_f64 v[2:3], v[4:5], v[2:3]
	s_delay_alu instid0(VALU_DEP_2) | instskip(NEXT) | instid1(VALU_DEP_2)
	v_fma_f64 v[4:5], v[4:5], v[0:1], v[10:11]
	v_fma_f64 v[2:3], v[0:1], v[6:7], -v[2:3]
	s_delay_alu instid0(VALU_DEP_2) | instskip(NEXT) | instid1(VALU_DEP_2)
	v_mul_f64 v[0:1], v[4:5], s[0:1]
	v_mul_f64 v[2:3], v[2:3], s[0:1]
	v_add_co_u32 v4, vcc_lo, v8, s3
	v_add_co_ci_u32_e32 v5, vcc_lo, s2, v9, vcc_lo
	global_store_b128 v[4:5], v[0:3], off
.LBB0_23:
	s_endpgm
	.section	.rodata,"a",@progbits
	.p2align	6, 0x0
	.amdhsa_kernel bluestein_single_back_len1122_dim1_dp_op_CI_CI
		.amdhsa_group_segment_fixed_size 35904
		.amdhsa_private_segment_fixed_size 532
		.amdhsa_kernarg_size 104
		.amdhsa_user_sgpr_count 15
		.amdhsa_user_sgpr_dispatch_ptr 0
		.amdhsa_user_sgpr_queue_ptr 0
		.amdhsa_user_sgpr_kernarg_segment_ptr 1
		.amdhsa_user_sgpr_dispatch_id 0
		.amdhsa_user_sgpr_private_segment_size 0
		.amdhsa_wavefront_size32 1
		.amdhsa_uses_dynamic_stack 0
		.amdhsa_enable_private_segment 1
		.amdhsa_system_sgpr_workgroup_id_x 1
		.amdhsa_system_sgpr_workgroup_id_y 0
		.amdhsa_system_sgpr_workgroup_id_z 0
		.amdhsa_system_sgpr_workgroup_info 0
		.amdhsa_system_vgpr_workitem_id 0
		.amdhsa_next_free_vgpr 256
		.amdhsa_next_free_sgpr 58
		.amdhsa_reserve_vcc 1
		.amdhsa_float_round_mode_32 0
		.amdhsa_float_round_mode_16_64 0
		.amdhsa_float_denorm_mode_32 3
		.amdhsa_float_denorm_mode_16_64 3
		.amdhsa_dx10_clamp 1
		.amdhsa_ieee_mode 1
		.amdhsa_fp16_overflow 0
		.amdhsa_workgroup_processor_mode 1
		.amdhsa_memory_ordered 1
		.amdhsa_forward_progress 0
		.amdhsa_shared_vgpr_count 0
		.amdhsa_exception_fp_ieee_invalid_op 0
		.amdhsa_exception_fp_denorm_src 0
		.amdhsa_exception_fp_ieee_div_zero 0
		.amdhsa_exception_fp_ieee_overflow 0
		.amdhsa_exception_fp_ieee_underflow 0
		.amdhsa_exception_fp_ieee_inexact 0
		.amdhsa_exception_int_div_zero 0
	.end_amdhsa_kernel
	.text
.Lfunc_end0:
	.size	bluestein_single_back_len1122_dim1_dp_op_CI_CI, .Lfunc_end0-bluestein_single_back_len1122_dim1_dp_op_CI_CI
                                        ; -- End function
	.section	.AMDGPU.csdata,"",@progbits
; Kernel info:
; codeLenInByte = 30760
; NumSgprs: 60
; NumVgprs: 256
; ScratchSize: 532
; MemoryBound: 0
; FloatMode: 240
; IeeeMode: 1
; LDSByteSize: 35904 bytes/workgroup (compile time only)
; SGPRBlocks: 7
; VGPRBlocks: 31
; NumSGPRsForWavesPerEU: 60
; NumVGPRsForWavesPerEU: 256
; Occupancy: 5
; WaveLimiterHint : 1
; COMPUTE_PGM_RSRC2:SCRATCH_EN: 1
; COMPUTE_PGM_RSRC2:USER_SGPR: 15
; COMPUTE_PGM_RSRC2:TRAP_HANDLER: 0
; COMPUTE_PGM_RSRC2:TGID_X_EN: 1
; COMPUTE_PGM_RSRC2:TGID_Y_EN: 0
; COMPUTE_PGM_RSRC2:TGID_Z_EN: 0
; COMPUTE_PGM_RSRC2:TIDIG_COMP_CNT: 0
	.text
	.p2alignl 7, 3214868480
	.fill 96, 4, 3214868480
	.type	__hip_cuid_57a61044fa29dc99,@object ; @__hip_cuid_57a61044fa29dc99
	.section	.bss,"aw",@nobits
	.globl	__hip_cuid_57a61044fa29dc99
__hip_cuid_57a61044fa29dc99:
	.byte	0                               ; 0x0
	.size	__hip_cuid_57a61044fa29dc99, 1

	.ident	"AMD clang version 19.0.0git (https://github.com/RadeonOpenCompute/llvm-project roc-6.4.0 25133 c7fe45cf4b819c5991fe208aaa96edf142730f1d)"
	.section	".note.GNU-stack","",@progbits
	.addrsig
	.addrsig_sym __hip_cuid_57a61044fa29dc99
	.amdgpu_metadata
---
amdhsa.kernels:
  - .args:
      - .actual_access:  read_only
        .address_space:  global
        .offset:         0
        .size:           8
        .value_kind:     global_buffer
      - .actual_access:  read_only
        .address_space:  global
        .offset:         8
        .size:           8
        .value_kind:     global_buffer
      - .actual_access:  read_only
        .address_space:  global
        .offset:         16
        .size:           8
        .value_kind:     global_buffer
      - .actual_access:  read_only
        .address_space:  global
        .offset:         24
        .size:           8
        .value_kind:     global_buffer
      - .actual_access:  read_only
        .address_space:  global
        .offset:         32
        .size:           8
        .value_kind:     global_buffer
      - .offset:         40
        .size:           8
        .value_kind:     by_value
      - .address_space:  global
        .offset:         48
        .size:           8
        .value_kind:     global_buffer
      - .address_space:  global
        .offset:         56
        .size:           8
        .value_kind:     global_buffer
      - .address_space:  global
        .offset:         64
        .size:           8
        .value_kind:     global_buffer
      - .address_space:  global
        .offset:         72
        .size:           8
        .value_kind:     global_buffer
      - .offset:         80
        .size:           4
        .value_kind:     by_value
      - .address_space:  global
        .offset:         88
        .size:           8
        .value_kind:     global_buffer
      - .address_space:  global
        .offset:         96
        .size:           8
        .value_kind:     global_buffer
    .group_segment_fixed_size: 35904
    .kernarg_segment_align: 8
    .kernarg_segment_size: 104
    .language:       OpenCL C
    .language_version:
      - 2
      - 0
    .max_flat_workgroup_size: 204
    .name:           bluestein_single_back_len1122_dim1_dp_op_CI_CI
    .private_segment_fixed_size: 532
    .sgpr_count:     60
    .sgpr_spill_count: 0
    .symbol:         bluestein_single_back_len1122_dim1_dp_op_CI_CI.kd
    .uniform_work_group_size: 1
    .uses_dynamic_stack: false
    .vgpr_count:     256
    .vgpr_spill_count: 178
    .wavefront_size: 32
    .workgroup_processor_mode: 1
amdhsa.target:   amdgcn-amd-amdhsa--gfx1100
amdhsa.version:
  - 1
  - 2
...

	.end_amdgpu_metadata
